;; amdgpu-corpus repo=ROCm/rocFFT kind=compiled arch=gfx1201 opt=O3
	.text
	.amdgcn_target "amdgcn-amd-amdhsa--gfx1201"
	.amdhsa_code_object_version 6
	.protected	fft_rtc_back_len2430_factors_10_3_3_3_3_3_wgs_81_tpt_81_halfLds_half_ip_CI_unitstride_sbrr_dirReg ; -- Begin function fft_rtc_back_len2430_factors_10_3_3_3_3_3_wgs_81_tpt_81_halfLds_half_ip_CI_unitstride_sbrr_dirReg
	.globl	fft_rtc_back_len2430_factors_10_3_3_3_3_3_wgs_81_tpt_81_halfLds_half_ip_CI_unitstride_sbrr_dirReg
	.p2align	8
	.type	fft_rtc_back_len2430_factors_10_3_3_3_3_3_wgs_81_tpt_81_halfLds_half_ip_CI_unitstride_sbrr_dirReg,@function
fft_rtc_back_len2430_factors_10_3_3_3_3_3_wgs_81_tpt_81_halfLds_half_ip_CI_unitstride_sbrr_dirReg: ; @fft_rtc_back_len2430_factors_10_3_3_3_3_3_wgs_81_tpt_81_halfLds_half_ip_CI_unitstride_sbrr_dirReg
; %bb.0:
	s_clause 0x2
	s_load_b128 s[4:7], s[0:1], 0x0
	s_load_b64 s[8:9], s[0:1], 0x50
	s_load_b64 s[10:11], s[0:1], 0x18
	v_mul_u32_u24_e32 v1, 0x32a, v0
	v_mov_b32_e32 v3, 0
	s_delay_alu instid0(VALU_DEP_2) | instskip(NEXT) | instid1(VALU_DEP_1)
	v_lshrrev_b32_e32 v1, 16, v1
	v_add_nc_u32_e32 v5, ttmp9, v1
	v_mov_b32_e32 v1, 0
	v_mov_b32_e32 v2, 0
	;; [unrolled: 1-line block ×3, first 2 shown]
	s_wait_kmcnt 0x0
	v_cmp_lt_u64_e64 s2, s[6:7], 2
	s_delay_alu instid0(VALU_DEP_1)
	s_and_b32 vcc_lo, exec_lo, s2
	s_cbranch_vccnz .LBB0_8
; %bb.1:
	s_load_b64 s[2:3], s[0:1], 0x10
	v_mov_b32_e32 v1, 0
	v_mov_b32_e32 v2, 0
	s_add_nc_u64 s[12:13], s[10:11], 8
	s_mov_b64 s[14:15], 1
	s_wait_kmcnt 0x0
	s_add_nc_u64 s[16:17], s[2:3], 8
	s_mov_b32 s3, 0
.LBB0_2:                                ; =>This Inner Loop Header: Depth=1
	s_load_b64 s[18:19], s[16:17], 0x0
                                        ; implicit-def: $vgpr7_vgpr8
	s_mov_b32 s2, exec_lo
	s_wait_kmcnt 0x0
	v_or_b32_e32 v4, s19, v6
	s_delay_alu instid0(VALU_DEP_1)
	v_cmpx_ne_u64_e32 0, v[3:4]
	s_wait_alu 0xfffe
	s_xor_b32 s20, exec_lo, s2
	s_cbranch_execz .LBB0_4
; %bb.3:                                ;   in Loop: Header=BB0_2 Depth=1
	s_cvt_f32_u32 s2, s18
	s_cvt_f32_u32 s21, s19
	s_sub_nc_u64 s[24:25], 0, s[18:19]
	s_wait_alu 0xfffe
	s_delay_alu instid0(SALU_CYCLE_1) | instskip(SKIP_1) | instid1(SALU_CYCLE_2)
	s_fmamk_f32 s2, s21, 0x4f800000, s2
	s_wait_alu 0xfffe
	v_s_rcp_f32 s2, s2
	s_delay_alu instid0(TRANS32_DEP_1) | instskip(SKIP_1) | instid1(SALU_CYCLE_2)
	s_mul_f32 s2, s2, 0x5f7ffffc
	s_wait_alu 0xfffe
	s_mul_f32 s21, s2, 0x2f800000
	s_wait_alu 0xfffe
	s_delay_alu instid0(SALU_CYCLE_2) | instskip(SKIP_1) | instid1(SALU_CYCLE_2)
	s_trunc_f32 s21, s21
	s_wait_alu 0xfffe
	s_fmamk_f32 s2, s21, 0xcf800000, s2
	s_cvt_u32_f32 s23, s21
	s_wait_alu 0xfffe
	s_delay_alu instid0(SALU_CYCLE_1) | instskip(SKIP_1) | instid1(SALU_CYCLE_2)
	s_cvt_u32_f32 s22, s2
	s_wait_alu 0xfffe
	s_mul_u64 s[26:27], s[24:25], s[22:23]
	s_wait_alu 0xfffe
	s_mul_hi_u32 s29, s22, s27
	s_mul_i32 s28, s22, s27
	s_mul_hi_u32 s2, s22, s26
	s_mul_i32 s30, s23, s26
	s_wait_alu 0xfffe
	s_add_nc_u64 s[28:29], s[2:3], s[28:29]
	s_mul_hi_u32 s21, s23, s26
	s_mul_hi_u32 s31, s23, s27
	s_add_co_u32 s2, s28, s30
	s_wait_alu 0xfffe
	s_add_co_ci_u32 s2, s29, s21
	s_mul_i32 s26, s23, s27
	s_add_co_ci_u32 s27, s31, 0
	s_wait_alu 0xfffe
	s_add_nc_u64 s[26:27], s[2:3], s[26:27]
	s_wait_alu 0xfffe
	v_add_co_u32 v4, s2, s22, s26
	s_delay_alu instid0(VALU_DEP_1) | instskip(SKIP_1) | instid1(VALU_DEP_1)
	s_cmp_lg_u32 s2, 0
	s_add_co_ci_u32 s23, s23, s27
	v_readfirstlane_b32 s22, v4
	s_wait_alu 0xfffe
	s_delay_alu instid0(VALU_DEP_1)
	s_mul_u64 s[24:25], s[24:25], s[22:23]
	s_wait_alu 0xfffe
	s_mul_hi_u32 s27, s22, s25
	s_mul_i32 s26, s22, s25
	s_mul_hi_u32 s2, s22, s24
	s_mul_i32 s28, s23, s24
	s_wait_alu 0xfffe
	s_add_nc_u64 s[26:27], s[2:3], s[26:27]
	s_mul_hi_u32 s21, s23, s24
	s_mul_hi_u32 s22, s23, s25
	s_wait_alu 0xfffe
	s_add_co_u32 s2, s26, s28
	s_add_co_ci_u32 s2, s27, s21
	s_mul_i32 s24, s23, s25
	s_add_co_ci_u32 s25, s22, 0
	s_wait_alu 0xfffe
	s_add_nc_u64 s[24:25], s[2:3], s[24:25]
	s_wait_alu 0xfffe
	v_add_co_u32 v4, s2, v4, s24
	s_delay_alu instid0(VALU_DEP_1) | instskip(SKIP_1) | instid1(VALU_DEP_1)
	s_cmp_lg_u32 s2, 0
	s_add_co_ci_u32 s2, s23, s25
	v_mul_hi_u32 v13, v5, v4
	s_wait_alu 0xfffe
	v_mad_co_u64_u32 v[7:8], null, v5, s2, 0
	v_mad_co_u64_u32 v[9:10], null, v6, v4, 0
	;; [unrolled: 1-line block ×3, first 2 shown]
	s_delay_alu instid0(VALU_DEP_3) | instskip(SKIP_1) | instid1(VALU_DEP_4)
	v_add_co_u32 v4, vcc_lo, v13, v7
	s_wait_alu 0xfffd
	v_add_co_ci_u32_e32 v7, vcc_lo, 0, v8, vcc_lo
	s_delay_alu instid0(VALU_DEP_2) | instskip(SKIP_1) | instid1(VALU_DEP_2)
	v_add_co_u32 v4, vcc_lo, v4, v9
	s_wait_alu 0xfffd
	v_add_co_ci_u32_e32 v4, vcc_lo, v7, v10, vcc_lo
	s_wait_alu 0xfffd
	v_add_co_ci_u32_e32 v7, vcc_lo, 0, v12, vcc_lo
	s_delay_alu instid0(VALU_DEP_2) | instskip(SKIP_1) | instid1(VALU_DEP_2)
	v_add_co_u32 v4, vcc_lo, v4, v11
	s_wait_alu 0xfffd
	v_add_co_ci_u32_e32 v9, vcc_lo, 0, v7, vcc_lo
	s_delay_alu instid0(VALU_DEP_2) | instskip(SKIP_1) | instid1(VALU_DEP_3)
	v_mul_lo_u32 v10, s19, v4
	v_mad_co_u64_u32 v[7:8], null, s18, v4, 0
	v_mul_lo_u32 v11, s18, v9
	s_delay_alu instid0(VALU_DEP_2) | instskip(NEXT) | instid1(VALU_DEP_2)
	v_sub_co_u32 v7, vcc_lo, v5, v7
	v_add3_u32 v8, v8, v11, v10
	s_delay_alu instid0(VALU_DEP_1) | instskip(SKIP_1) | instid1(VALU_DEP_1)
	v_sub_nc_u32_e32 v10, v6, v8
	s_wait_alu 0xfffd
	v_subrev_co_ci_u32_e64 v10, s2, s19, v10, vcc_lo
	v_add_co_u32 v11, s2, v4, 2
	s_wait_alu 0xf1ff
	v_add_co_ci_u32_e64 v12, s2, 0, v9, s2
	v_sub_co_u32 v13, s2, v7, s18
	v_sub_co_ci_u32_e32 v8, vcc_lo, v6, v8, vcc_lo
	s_wait_alu 0xf1ff
	v_subrev_co_ci_u32_e64 v10, s2, 0, v10, s2
	s_delay_alu instid0(VALU_DEP_3) | instskip(NEXT) | instid1(VALU_DEP_3)
	v_cmp_le_u32_e32 vcc_lo, s18, v13
	v_cmp_eq_u32_e64 s2, s19, v8
	s_wait_alu 0xfffd
	v_cndmask_b32_e64 v13, 0, -1, vcc_lo
	v_cmp_le_u32_e32 vcc_lo, s19, v10
	s_wait_alu 0xfffd
	v_cndmask_b32_e64 v14, 0, -1, vcc_lo
	v_cmp_le_u32_e32 vcc_lo, s18, v7
	;; [unrolled: 3-line block ×3, first 2 shown]
	s_wait_alu 0xfffd
	v_cndmask_b32_e64 v15, 0, -1, vcc_lo
	v_cmp_eq_u32_e32 vcc_lo, s19, v10
	s_wait_alu 0xf1ff
	s_delay_alu instid0(VALU_DEP_2)
	v_cndmask_b32_e64 v7, v15, v7, s2
	s_wait_alu 0xfffd
	v_cndmask_b32_e32 v10, v14, v13, vcc_lo
	v_add_co_u32 v13, vcc_lo, v4, 1
	s_wait_alu 0xfffd
	v_add_co_ci_u32_e32 v14, vcc_lo, 0, v9, vcc_lo
	s_delay_alu instid0(VALU_DEP_3) | instskip(SKIP_2) | instid1(VALU_DEP_3)
	v_cmp_ne_u32_e32 vcc_lo, 0, v10
	s_wait_alu 0xfffd
	v_cndmask_b32_e32 v10, v13, v11, vcc_lo
	v_cndmask_b32_e32 v8, v14, v12, vcc_lo
	v_cmp_ne_u32_e32 vcc_lo, 0, v7
	s_wait_alu 0xfffd
	s_delay_alu instid0(VALU_DEP_2)
	v_dual_cndmask_b32 v7, v4, v10 :: v_dual_cndmask_b32 v8, v9, v8
.LBB0_4:                                ;   in Loop: Header=BB0_2 Depth=1
	s_wait_alu 0xfffe
	s_and_not1_saveexec_b32 s2, s20
	s_cbranch_execz .LBB0_6
; %bb.5:                                ;   in Loop: Header=BB0_2 Depth=1
	v_cvt_f32_u32_e32 v4, s18
	s_sub_co_i32 s20, 0, s18
	s_delay_alu instid0(VALU_DEP_1) | instskip(NEXT) | instid1(TRANS32_DEP_1)
	v_rcp_iflag_f32_e32 v4, v4
	v_mul_f32_e32 v4, 0x4f7ffffe, v4
	s_delay_alu instid0(VALU_DEP_1) | instskip(SKIP_1) | instid1(VALU_DEP_1)
	v_cvt_u32_f32_e32 v4, v4
	s_wait_alu 0xfffe
	v_mul_lo_u32 v7, s20, v4
	s_delay_alu instid0(VALU_DEP_1) | instskip(NEXT) | instid1(VALU_DEP_1)
	v_mul_hi_u32 v7, v4, v7
	v_add_nc_u32_e32 v4, v4, v7
	s_delay_alu instid0(VALU_DEP_1) | instskip(NEXT) | instid1(VALU_DEP_1)
	v_mul_hi_u32 v4, v5, v4
	v_mul_lo_u32 v7, v4, s18
	v_add_nc_u32_e32 v8, 1, v4
	s_delay_alu instid0(VALU_DEP_2) | instskip(NEXT) | instid1(VALU_DEP_1)
	v_sub_nc_u32_e32 v7, v5, v7
	v_subrev_nc_u32_e32 v9, s18, v7
	v_cmp_le_u32_e32 vcc_lo, s18, v7
	s_wait_alu 0xfffd
	s_delay_alu instid0(VALU_DEP_2) | instskip(NEXT) | instid1(VALU_DEP_1)
	v_dual_cndmask_b32 v7, v7, v9 :: v_dual_cndmask_b32 v4, v4, v8
	v_cmp_le_u32_e32 vcc_lo, s18, v7
	s_delay_alu instid0(VALU_DEP_2) | instskip(SKIP_1) | instid1(VALU_DEP_1)
	v_add_nc_u32_e32 v8, 1, v4
	s_wait_alu 0xfffd
	v_dual_cndmask_b32 v7, v4, v8 :: v_dual_mov_b32 v8, v3
.LBB0_6:                                ;   in Loop: Header=BB0_2 Depth=1
	s_wait_alu 0xfffe
	s_or_b32 exec_lo, exec_lo, s2
	s_load_b64 s[20:21], s[12:13], 0x0
	s_delay_alu instid0(VALU_DEP_1)
	v_mul_lo_u32 v4, v8, s18
	v_mul_lo_u32 v11, v7, s19
	v_mad_co_u64_u32 v[9:10], null, v7, s18, 0
	s_add_nc_u64 s[14:15], s[14:15], 1
	s_add_nc_u64 s[12:13], s[12:13], 8
	s_wait_alu 0xfffe
	v_cmp_ge_u64_e64 s2, s[14:15], s[6:7]
	s_add_nc_u64 s[16:17], s[16:17], 8
	s_delay_alu instid0(VALU_DEP_2) | instskip(NEXT) | instid1(VALU_DEP_3)
	v_add3_u32 v4, v10, v11, v4
	v_sub_co_u32 v5, vcc_lo, v5, v9
	s_wait_alu 0xfffd
	s_delay_alu instid0(VALU_DEP_2) | instskip(SKIP_3) | instid1(VALU_DEP_2)
	v_sub_co_ci_u32_e32 v4, vcc_lo, v6, v4, vcc_lo
	s_and_b32 vcc_lo, exec_lo, s2
	s_wait_kmcnt 0x0
	v_mul_lo_u32 v6, s21, v5
	v_mul_lo_u32 v4, s20, v4
	v_mad_co_u64_u32 v[1:2], null, s20, v5, v[1:2]
	s_delay_alu instid0(VALU_DEP_1)
	v_add3_u32 v2, v6, v2, v4
	s_wait_alu 0xfffe
	s_cbranch_vccnz .LBB0_9
; %bb.7:                                ;   in Loop: Header=BB0_2 Depth=1
	v_dual_mov_b32 v5, v7 :: v_dual_mov_b32 v6, v8
	s_branch .LBB0_2
.LBB0_8:
	v_dual_mov_b32 v8, v6 :: v_dual_mov_b32 v7, v5
.LBB0_9:
	s_lshl_b64 s[2:3], s[6:7], 3
	v_mul_hi_u32 v5, 0x3291620, v0
	s_wait_alu 0xfffe
	s_add_nc_u64 s[2:3], s[10:11], s[2:3]
                                        ; implicit-def: $vgpr11
                                        ; implicit-def: $vgpr18
                                        ; implicit-def: $vgpr21
                                        ; implicit-def: $vgpr12
                                        ; implicit-def: $vgpr9
                                        ; implicit-def: $vgpr19
                                        ; implicit-def: $vgpr16
                                        ; implicit-def: $vgpr13
                                        ; implicit-def: $vgpr10
                                        ; implicit-def: $vgpr20
                                        ; implicit-def: $vgpr15
                                        ; implicit-def: $vgpr14
                                        ; implicit-def: $vgpr22
                                        ; implicit-def: $vgpr17
                                        ; implicit-def: $vgpr6
                                        ; implicit-def: $vgpr32
                                        ; implicit-def: $vgpr30
                                        ; implicit-def: $vgpr58
                                        ; implicit-def: $vgpr54
                                        ; implicit-def: $vgpr33
                                        ; implicit-def: $vgpr29
                                        ; implicit-def: $vgpr59
                                        ; implicit-def: $vgpr49
                                        ; implicit-def: $vgpr41
                                        ; implicit-def: $vgpr28
                                        ; implicit-def: $vgpr61
                                        ; implicit-def: $vgpr47
                                        ; implicit-def: $vgpr42
                                        ; implicit-def: $vgpr27
                                        ; implicit-def: $vgpr62
                                        ; implicit-def: $vgpr51
                                        ; implicit-def: $vgpr31
                                        ; implicit-def: $vgpr24
                                        ; implicit-def: $vgpr25
                                        ; implicit-def: $vgpr23
                                        ; implicit-def: $vgpr40
                                        ; implicit-def: $vgpr37
                                        ; implicit-def: $vgpr55
                                        ; implicit-def: $vgpr53
                                        ; implicit-def: $vgpr43
                                        ; implicit-def: $vgpr36
                                        ; implicit-def: $vgpr56
                                        ; implicit-def: $vgpr50
                                        ; implicit-def: $vgpr45
                                        ; implicit-def: $vgpr35
                                        ; implicit-def: $vgpr57
                                        ; implicit-def: $vgpr48
                                        ; implicit-def: $vgpr46
                                        ; implicit-def: $vgpr34
                                        ; implicit-def: $vgpr60
                                        ; implicit-def: $vgpr52
                                        ; implicit-def: $vgpr39
                                        ; implicit-def: $vgpr26
                                        ; implicit-def: $vgpr44
                                        ; implicit-def: $vgpr38
	s_load_b64 s[2:3], s[2:3], 0x0
	s_load_b64 s[0:1], s[0:1], 0x20
	s_wait_kmcnt 0x0
	v_mul_lo_u32 v3, s2, v8
	v_mul_lo_u32 v4, s3, v7
	v_mad_co_u64_u32 v[1:2], null, s2, v7, v[1:2]
	v_cmp_gt_u64_e32 vcc_lo, s[0:1], v[7:8]
                                        ; implicit-def: $vgpr7
                                        ; implicit-def: $vgpr8
	s_delay_alu instid0(VALU_DEP_2) | instskip(SKIP_1) | instid1(VALU_DEP_2)
	v_add3_u32 v2, v4, v2, v3
	v_mul_u32_u24_e32 v4, 0x51, v5
                                        ; implicit-def: $vgpr5
	v_lshlrev_b64_e32 v[2:3], 2, v[1:2]
	s_delay_alu instid0(VALU_DEP_2)
	v_sub_nc_u32_e32 v0, v0, v4
                                        ; implicit-def: $vgpr4
                                        ; implicit-def: $vgpr1
	s_and_saveexec_b32 s1, vcc_lo
	s_cbranch_execz .LBB0_11
; %bb.10:
	v_mov_b32_e32 v1, 0
	s_delay_alu instid0(VALU_DEP_1) | instskip(SKIP_3) | instid1(VALU_DEP_2)
	v_lshlrev_b64_e32 v[4:5], 2, v[0:1]
	v_add_co_u32 v1, s0, s8, v2
	s_wait_alu 0xf1ff
	v_add_co_ci_u32_e64 v7, s0, s9, v3, s0
	v_add_co_u32 v6, s0, v1, v4
	s_wait_alu 0xf1ff
	s_delay_alu instid0(VALU_DEP_2)
	v_add_co_ci_u32_e64 v7, s0, v7, v5, s0
	s_clause 0x1d
	global_load_b32 v26, v[6:7], off offset:972
	global_load_b32 v52, v[6:7], off offset:1944
	global_load_b32 v38, v[6:7], off
	global_load_b32 v34, v[6:7], off offset:2916
	global_load_b32 v48, v[6:7], off offset:3888
	;; [unrolled: 1-line block ×27, first 2 shown]
	s_wait_loadcnt 0x1d
	v_lshrrev_b32_e32 v39, 16, v26
	s_wait_loadcnt 0x1c
	v_lshrrev_b32_e32 v60, 16, v52
	;; [unrolled: 2-line block ×30, first 2 shown]
.LBB0_11:
	s_wait_alu 0xfffe
	s_or_b32 exec_lo, exec_lo, s1
	v_add_f16_e32 v63, v50, v48
	v_add_f16_e32 v64, v52, v38
	v_sub_f16_e32 v65, v60, v55
	v_add_f16_e32 v69, v53, v52
	v_sub_f16_e32 v66, v57, v56
	v_fma_f16 v63, -0.5, v63, v38
	v_sub_f16_e32 v67, v52, v48
	v_sub_f16_e32 v68, v53, v50
	v_add_f16_e32 v64, v48, v64
	v_fmac_f16_e32 v38, -0.5, v69
	v_fmamk_f16 v71, v65, 0xbb9c, v63
	v_fmac_f16_e32 v63, 0x3b9c, v65
	v_add_f16_e32 v72, v60, v44
	v_sub_f16_e32 v70, v48, v52
	v_add_f16_e32 v67, v68, v67
	v_add_f16_e32 v64, v50, v64
	v_fmac_f16_e32 v71, 0xb8b4, v66
	v_sub_f16_e32 v68, v50, v53
	v_fmamk_f16 v69, v66, 0x3b9c, v38
	v_fmac_f16_e32 v63, 0x38b4, v66
	v_add_f16_e32 v73, v56, v57
	v_fmac_f16_e32 v38, 0xbb9c, v66
	v_add_f16_e32 v66, v57, v72
	v_add_f16_e32 v64, v53, v64
	;; [unrolled: 1-line block ×3, first 2 shown]
	v_fma_f16 v70, -0.5, v73, v44
	v_sub_f16_e32 v52, v52, v53
	v_add_f16_e32 v53, v56, v66
	v_add_f16_e32 v66, v55, v60
	v_fmac_f16_e32 v71, 0x34f2, v67
	v_fmac_f16_e32 v69, 0xb8b4, v65
	;; [unrolled: 1-line block ×4, first 2 shown]
	v_fmamk_f16 v65, v52, 0x3b9c, v70
	v_sub_f16_e32 v48, v48, v50
	v_sub_f16_e32 v50, v60, v57
	;; [unrolled: 1-line block ×3, first 2 shown]
	v_fmac_f16_e32 v44, -0.5, v66
	v_add_f16_e32 v66, v55, v53
	v_fmac_f16_e32 v70, 0xbb9c, v52
	v_sub_f16_e32 v55, v56, v55
	v_add_f16_e32 v56, v34, v26
	v_fmac_f16_e32 v65, 0x38b4, v48
	v_add_f16_e32 v50, v67, v50
	v_fmamk_f16 v67, v48, 0xbb9c, v44
	v_sub_f16_e32 v53, v57, v60
	v_fmac_f16_e32 v70, 0xb8b4, v48
	v_fmac_f16_e32 v44, 0x3b9c, v48
	v_add_f16_e32 v48, v35, v56
	v_fmac_f16_e32 v65, 0x34f2, v50
	v_fmac_f16_e32 v67, 0x38b4, v52
	v_add_f16_e32 v53, v55, v53
	v_add_f16_e32 v55, v36, v35
	v_fmac_f16_e32 v70, 0x34f2, v50
	v_fmac_f16_e32 v44, 0xb8b4, v52
	v_add_f16_e32 v48, v36, v48
	v_add_f16_e32 v50, v37, v34
	v_fmac_f16_e32 v67, 0x34f2, v53
	v_fma_f16 v52, -0.5, v55, v26
	v_sub_f16_e32 v55, v46, v40
	v_fmac_f16_e32 v44, 0x34f2, v53
	v_add_f16_e32 v53, v37, v48
	v_sub_f16_e32 v48, v45, v43
	v_fmac_f16_e32 v26, -0.5, v50
	v_fmamk_f16 v50, v55, 0xbb9c, v52
	v_sub_f16_e32 v56, v34, v35
	v_sub_f16_e32 v57, v37, v36
	v_fmac_f16_e32 v52, 0x3b9c, v55
	v_fmamk_f16 v60, v48, 0x3b9c, v26
	v_fmac_f16_e32 v26, 0xbb9c, v48
	v_fmac_f16_e32 v69, 0x34f2, v68
	;; [unrolled: 1-line block ×3, first 2 shown]
	v_sub_f16_e32 v68, v35, v34
	v_sub_f16_e32 v72, v36, v37
	v_fmac_f16_e32 v50, 0xb8b4, v48
	v_add_f16_e32 v56, v57, v56
	v_fmac_f16_e32 v52, 0x38b4, v48
	v_fmac_f16_e32 v60, 0xb8b4, v55
	v_add_f16_e32 v48, v43, v45
	v_fmac_f16_e32 v26, 0x38b4, v55
	v_add_f16_e32 v55, v40, v46
	v_add_f16_e32 v57, v72, v68
	v_fmac_f16_e32 v50, 0x34f2, v56
	v_fmac_f16_e32 v52, 0x34f2, v56
	v_fma_f16 v56, -0.5, v48, v39
	v_sub_f16_e32 v34, v34, v37
	v_add_f16_e32 v37, v46, v39
	v_sub_f16_e32 v35, v35, v36
	v_fmac_f16_e32 v39, -0.5, v55
	v_fmac_f16_e32 v60, 0x34f2, v57
	v_fmac_f16_e32 v26, 0x34f2, v57
	v_fmamk_f16 v36, v34, 0x3b9c, v56
	v_sub_f16_e32 v48, v46, v45
	v_sub_f16_e32 v55, v40, v43
	v_fmamk_f16 v57, v35, 0xbb9c, v39
	v_sub_f16_e32 v46, v45, v46
	v_sub_f16_e32 v68, v43, v40
	v_fmac_f16_e32 v56, 0xbb9c, v34
	v_fmac_f16_e32 v39, 0x3b9c, v35
	v_add_f16_e32 v48, v55, v48
	v_fmac_f16_e32 v57, 0x38b4, v34
	v_add_f16_e32 v46, v68, v46
	v_fmac_f16_e32 v56, 0xb8b4, v35
	v_fmac_f16_e32 v36, 0x38b4, v35
	v_fmac_f16_e32 v39, 0xb8b4, v34
	v_add_f16_e32 v34, v45, v37
	v_fmac_f16_e32 v57, 0x34f2, v46
	v_fmac_f16_e32 v56, 0x34f2, v48
	;; [unrolled: 1-line block ×4, first 2 shown]
	v_add_f16_e32 v34, v43, v34
	v_mul_f16_e32 v68, 0xbb9c, v57
	v_mul_f16_e32 v73, 0xb8b4, v56
	;; [unrolled: 1-line block ×4, first 2 shown]
	v_add_f16_e32 v40, v40, v34
	v_fmac_f16_e32 v68, 0x34f2, v60
	v_fmac_f16_e32 v73, 0xba79, v52
	v_mul_f16_e32 v60, 0x3b9c, v60
	v_fmac_f16_e32 v55, 0x3a79, v50
	v_fmac_f16_e32 v72, 0xb4f2, v26
	v_mul_f16_e32 v74, 0x38b4, v50
	v_mul_f16_e32 v75, 0xb4f2, v39
	;; [unrolled: 1-line block ×3, first 2 shown]
	v_add_f16_e32 v50, v63, v73
	v_fmac_f16_e32 v60, 0x34f2, v57
	v_add_f16_e32 v39, v49, v47
	v_sub_f16_e32 v56, v63, v73
	v_add_f16_e32 v63, v51, v23
	v_add_f16_e32 v43, v53, v64
	;; [unrolled: 1-line block ×5, first 2 shown]
	v_fmac_f16_e32 v74, 0x3a79, v36
	v_fmac_f16_e32 v75, 0x3b9c, v26
	;; [unrolled: 1-line block ×3, first 2 shown]
	v_add_f16_e32 v26, v40, v66
	v_add_f16_e32 v36, v67, v60
	v_sub_f16_e32 v52, v64, v53
	v_sub_f16_e32 v53, v71, v55
	;; [unrolled: 1-line block ×4, first 2 shown]
	v_fma_f16 v64, -0.5, v39, v23
	v_sub_f16_e32 v68, v62, v58
	v_sub_f16_e32 v38, v66, v40
	;; [unrolled: 1-line block ×3, first 2 shown]
	v_add_f16_e32 v60, v47, v63
	v_add_f16_e32 v69, v54, v51
	;; [unrolled: 1-line block ×3, first 2 shown]
	v_sub_f16_e32 v39, v65, v74
	v_fmamk_f16 v63, v68, 0xbb9c, v64
	v_sub_f16_e32 v65, v61, v59
	v_sub_f16_e32 v66, v51, v47
	;; [unrolled: 1-line block ×3, first 2 shown]
	v_add_f16_e32 v71, v49, v60
	v_fmac_f16_e32 v23, -0.5, v69
	v_fmac_f16_e32 v64, 0x3b9c, v68
	v_add_f16_e32 v72, v62, v25
	v_add_f16_e32 v35, v70, v76
	v_fmac_f16_e32 v63, 0xb8b4, v65
	v_add_f16_e32 v66, v67, v66
	v_sub_f16_e32 v60, v70, v76
	v_add_f16_e32 v67, v54, v71
	v_fmamk_f16 v69, v65, 0x3b9c, v23
	v_sub_f16_e32 v70, v47, v51
	v_sub_f16_e32 v71, v49, v54
	v_fmac_f16_e32 v64, 0x38b4, v65
	v_add_f16_e32 v73, v59, v61
	v_fmac_f16_e32 v23, 0xbb9c, v65
	v_add_f16_e32 v65, v61, v72
	;; [unrolled: 2-line block ×3, first 2 shown]
	v_fma_f16 v71, -0.5, v73, v25
	v_sub_f16_e32 v51, v51, v54
	v_fmac_f16_e32 v64, 0x34f2, v66
	v_add_f16_e32 v54, v59, v65
	v_add_f16_e32 v66, v58, v62
	v_fmac_f16_e32 v69, 0xb8b4, v68
	v_fmac_f16_e32 v23, 0x38b4, v68
	v_fmamk_f16 v65, v51, 0x3b9c, v71
	v_sub_f16_e32 v47, v47, v49
	v_sub_f16_e32 v49, v62, v61
	;; [unrolled: 1-line block ×3, first 2 shown]
	v_fmac_f16_e32 v25, -0.5, v66
	v_add_f16_e32 v54, v58, v54
	v_fmac_f16_e32 v71, 0xbb9c, v51
	v_sub_f16_e32 v58, v59, v58
	v_add_f16_e32 v59, v27, v24
	v_fmac_f16_e32 v65, 0x38b4, v47
	v_add_f16_e32 v49, v68, v49
	v_fmamk_f16 v66, v47, 0xbb9c, v25
	v_sub_f16_e32 v61, v61, v62
	v_fmac_f16_e32 v71, 0xb8b4, v47
	v_fmac_f16_e32 v25, 0x3b9c, v47
	v_add_f16_e32 v47, v28, v59
	v_add_f16_e32 v59, v29, v28
	v_fmac_f16_e32 v65, 0x34f2, v49
	v_fmac_f16_e32 v66, 0x38b4, v51
	v_add_f16_e32 v58, v58, v61
	v_fmac_f16_e32 v71, 0x34f2, v49
	v_fmac_f16_e32 v25, 0xb8b4, v51
	v_fma_f16 v49, -0.5, v59, v24
	v_add_f16_e32 v51, v30, v27
	v_sub_f16_e32 v59, v42, v32
	v_fmac_f16_e32 v66, 0x34f2, v58
	v_fmac_f16_e32 v25, 0x34f2, v58
	v_sub_f16_e32 v58, v41, v33
	v_fmac_f16_e32 v24, -0.5, v51
	v_fmamk_f16 v51, v59, 0xbb9c, v49
	v_fmac_f16_e32 v49, 0x3b9c, v59
	v_sub_f16_e32 v61, v27, v28
	v_sub_f16_e32 v62, v30, v29
	v_fmamk_f16 v68, v58, 0x3b9c, v24
	v_fmac_f16_e32 v51, 0xb8b4, v58
	v_fmac_f16_e32 v49, 0x38b4, v58
	;; [unrolled: 1-line block ×3, first 2 shown]
	v_add_f16_e32 v58, v33, v41
	v_fmac_f16_e32 v69, 0x34f2, v70
	v_fmac_f16_e32 v23, 0x34f2, v70
	v_add_f16_e32 v47, v29, v47
	v_sub_f16_e32 v70, v28, v27
	v_sub_f16_e32 v72, v29, v30
	v_add_f16_e32 v61, v62, v61
	v_fmac_f16_e32 v68, 0xb8b4, v59
	v_fmac_f16_e32 v24, 0x38b4, v59
	v_add_f16_e32 v59, v32, v42
	v_fma_f16 v58, -0.5, v58, v31
	v_sub_f16_e32 v27, v27, v30
	v_add_f16_e32 v47, v30, v47
	v_add_f16_e32 v62, v72, v70
	v_fmac_f16_e32 v51, 0x34f2, v61
	v_fmac_f16_e32 v49, 0x34f2, v61
	v_add_f16_e32 v30, v42, v31
	v_sub_f16_e32 v28, v28, v29
	v_fmac_f16_e32 v31, -0.5, v59
	v_fmamk_f16 v29, v27, 0x3b9c, v58
	v_sub_f16_e32 v59, v42, v41
	v_sub_f16_e32 v61, v32, v33
	v_fmac_f16_e32 v68, 0x34f2, v62
	v_fmac_f16_e32 v24, 0x34f2, v62
	v_fmamk_f16 v62, v28, 0xbb9c, v31
	v_sub_f16_e32 v42, v41, v42
	v_sub_f16_e32 v70, v33, v32
	v_fmac_f16_e32 v31, 0x3b9c, v28
	v_fmac_f16_e32 v29, 0x38b4, v28
	v_add_f16_e32 v59, v61, v59
	v_fmac_f16_e32 v62, 0x38b4, v27
	v_add_f16_e32 v42, v70, v42
	v_fmac_f16_e32 v31, 0xb8b4, v27
	v_fmac_f16_e32 v58, 0xbb9c, v27
	;; [unrolled: 1-line block ×3, first 2 shown]
	v_add_f16_e32 v27, v41, v30
	v_fmac_f16_e32 v62, 0x34f2, v42
	v_fmac_f16_e32 v31, 0x34f2, v42
	v_fmac_f16_e32 v58, 0xb8b4, v28
	v_mul_f16_e32 v28, 0xb8b4, v29
	v_add_f16_e32 v27, v33, v27
	v_mul_f16_e32 v30, 0xbb9c, v62
	v_mul_f16_e32 v33, 0xbb9c, v31
	v_fmac_f16_e32 v58, 0x34f2, v59
	v_fmac_f16_e32 v28, 0x3a79, v51
	v_mul_f16_e32 v51, 0x38b4, v51
	v_add_f16_e32 v27, v32, v27
	v_fmac_f16_e32 v30, 0x34f2, v68
	v_fmac_f16_e32 v33, 0xb4f2, v24
	v_mul_f16_e32 v32, 0xb8b4, v58
	v_add_f16_e32 v41, v47, v67
	v_add_f16_e32 v42, v63, v28
	v_mul_f16_e32 v68, 0x3b9c, v68
	v_mul_f16_e32 v31, 0xb4f2, v31
	;; [unrolled: 1-line block ×3, first 2 shown]
	v_fmac_f16_e32 v51, 0x3a79, v29
	v_sub_f16_e32 v29, v67, v47
	v_sub_f16_e32 v28, v63, v28
	v_add_f16_e32 v47, v16, v15
	v_add_f16_e32 v63, v21, v17
	v_add_f16_e32 v59, v69, v30
	v_add_f16_e32 v61, v23, v33
	v_fmac_f16_e32 v32, 0xba79, v49
	v_fmac_f16_e32 v68, 0x34f2, v62
	;; [unrolled: 1-line block ×4, first 2 shown]
	v_add_f16_e32 v24, v27, v54
	v_add_f16_e32 v72, v65, v51
	v_sub_f16_e32 v30, v69, v30
	v_sub_f16_e32 v23, v23, v33
	v_add_f16_e32 v33, v17, v1
	v_fma_f16 v47, -0.5, v47, v1
	v_sub_f16_e32 v49, v22, v18
	v_sub_f16_e32 v67, v54, v27
	;; [unrolled: 1-line block ×6, first 2 shown]
	v_fmac_f16_e32 v1, -0.5, v63
	v_add_f16_e32 v74, v25, v31
	v_add_f16_e32 v27, v15, v33
	v_fmamk_f16 v33, v49, 0xbb9c, v47
	v_sub_f16_e32 v25, v25, v31
	v_add_f16_e32 v31, v62, v54
	v_fmac_f16_e32 v47, 0x3b9c, v49
	v_fmamk_f16 v54, v51, 0x3b9c, v1
	v_add_f16_e32 v63, v22, v5
	v_fmac_f16_e32 v1, 0xbb9c, v51
	v_add_f16_e32 v37, v44, v75
	v_sub_f16_e32 v44, v44, v75
	v_add_f16_e32 v70, v64, v32
	v_add_f16_e32 v73, v66, v68
	;; [unrolled: 1-line block ×3, first 2 shown]
	v_sub_f16_e32 v32, v64, v32
	v_sub_f16_e32 v66, v66, v68
	v_add_f16_e32 v27, v16, v27
	v_fmac_f16_e32 v33, 0xb8b4, v51
	v_sub_f16_e32 v68, v71, v58
	v_sub_f16_e32 v58, v15, v17
	;; [unrolled: 1-line block ×3, first 2 shown]
	v_fmac_f16_e32 v47, 0x38b4, v51
	v_add_f16_e32 v64, v19, v20
	v_fmac_f16_e32 v54, 0xb8b4, v49
	v_add_f16_e32 v51, v20, v63
	;; [unrolled: 2-line block ×3, first 2 shown]
	v_add_f16_e32 v27, v21, v27
	v_add_f16_e32 v58, v62, v58
	v_fma_f16 v62, -0.5, v64, v5
	v_sub_f16_e32 v17, v17, v21
	v_add_f16_e32 v21, v19, v51
	v_sub_f16_e32 v15, v15, v16
	v_fmac_f16_e32 v5, -0.5, v49
	v_fmac_f16_e32 v33, 0x34f2, v31
	v_fmac_f16_e32 v47, 0x34f2, v31
	v_fmamk_f16 v31, v17, 0x3b9c, v62
	v_sub_f16_e32 v16, v22, v20
	v_sub_f16_e32 v51, v18, v19
	v_add_f16_e32 v21, v18, v21
	v_fmac_f16_e32 v62, 0xbb9c, v17
	v_fmamk_f16 v49, v15, 0xbb9c, v5
	v_sub_f16_e32 v20, v20, v22
	v_sub_f16_e32 v18, v19, v18
	v_add_f16_e32 v19, v8, v4
	v_fmac_f16_e32 v5, 0x3b9c, v15
	v_fmac_f16_e32 v31, 0x38b4, v15
	v_add_f16_e32 v16, v51, v16
	v_fmac_f16_e32 v62, 0xb8b4, v15
	v_fmac_f16_e32 v49, 0x38b4, v17
	v_add_f16_e32 v18, v18, v20
	v_add_f16_e32 v15, v10, v19
	;; [unrolled: 1-line block ×3, first 2 shown]
	v_fmac_f16_e32 v5, 0xb8b4, v17
	v_add_f16_e32 v17, v11, v8
	v_fmac_f16_e32 v31, 0x34f2, v16
	v_fmac_f16_e32 v62, 0x34f2, v16
	;; [unrolled: 1-line block ×3, first 2 shown]
	v_fma_f16 v16, -0.5, v19, v4
	v_sub_f16_e32 v19, v14, v7
	v_fmac_f16_e32 v5, 0x34f2, v18
	v_sub_f16_e32 v18, v13, v12
	v_fmac_f16_e32 v4, -0.5, v17
	v_fmac_f16_e32 v54, 0x34f2, v58
	v_fmamk_f16 v17, v19, 0xbb9c, v16
	v_fmac_f16_e32 v16, 0x3b9c, v19
	v_fmac_f16_e32 v1, 0x34f2, v58
	v_fmamk_f16 v51, v18, 0x3b9c, v4
	v_fmac_f16_e32 v4, 0xbb9c, v18
	v_add_f16_e32 v15, v9, v15
	v_sub_f16_e32 v20, v8, v10
	v_sub_f16_e32 v22, v11, v9
	;; [unrolled: 1-line block ×4, first 2 shown]
	v_fmac_f16_e32 v17, 0xb8b4, v18
	v_fmac_f16_e32 v16, 0x38b4, v18
	;; [unrolled: 1-line block ×3, first 2 shown]
	v_add_f16_e32 v18, v12, v13
	v_fmac_f16_e32 v4, 0x38b4, v19
	v_add_f16_e32 v19, v7, v14
	v_add_f16_e32 v15, v11, v15
	;; [unrolled: 1-line block ×4, first 2 shown]
	v_fma_f16 v18, -0.5, v18, v6
	v_sub_f16_e32 v8, v8, v11
	v_add_f16_e32 v11, v14, v6
	v_sub_f16_e32 v9, v10, v9
	v_fmac_f16_e32 v6, -0.5, v19
	v_fmac_f16_e32 v51, 0x34f2, v22
	v_fmac_f16_e32 v4, 0x34f2, v22
	v_sub_f16_e32 v19, v14, v13
	v_sub_f16_e32 v14, v13, v14
	v_fmamk_f16 v22, v9, 0xbb9c, v6
	v_sub_f16_e32 v58, v12, v7
	v_fmac_f16_e32 v6, 0x3b9c, v9
	v_fmac_f16_e32 v17, 0x34f2, v20
	;; [unrolled: 1-line block ×3, first 2 shown]
	v_fmamk_f16 v10, v8, 0x3b9c, v18
	v_sub_f16_e32 v20, v7, v12
	v_add_f16_e32 v14, v58, v14
	v_fmac_f16_e32 v6, 0xb8b4, v8
	v_fmac_f16_e32 v18, 0xbb9c, v8
	;; [unrolled: 1-line block ×3, first 2 shown]
	v_add_f16_e32 v19, v20, v19
	v_fmac_f16_e32 v22, 0x38b4, v8
	v_add_f16_e32 v8, v13, v11
	v_fmac_f16_e32 v6, 0x34f2, v14
	v_fmac_f16_e32 v18, 0xb8b4, v9
	;; [unrolled: 1-line block ×4, first 2 shown]
	v_add_f16_e32 v8, v12, v8
	v_mul_f16_e32 v12, 0xbb9c, v6
	v_fmac_f16_e32 v18, 0x34f2, v19
	v_mul_f16_e32 v9, 0xb8b4, v10
	v_mul_f16_e32 v11, 0xbb9c, v22
	v_add_f16_e32 v7, v7, v8
	v_fmac_f16_e32 v12, 0xb4f2, v4
	v_mul_f16_e32 v8, 0xb8b4, v18
	v_fmac_f16_e32 v9, 0x3a79, v17
	v_fmac_f16_e32 v11, 0x34f2, v51
	v_mul_f16_e32 v6, 0xb4f2, v6
	v_add_f16_e32 v20, v1, v12
	v_mul_f16_e32 v18, 0xba79, v18
	v_sub_f16_e32 v1, v1, v12
	v_mul_u32_u24_e32 v12, 10, v0
	v_fmac_f16_e32 v8, 0xba79, v16
	v_mul_f16_e32 v17, 0x38b4, v17
	v_add_f16_e32 v13, v15, v27
	v_add_f16_e32 v14, v33, v9
	v_add_f16_e32 v19, v54, v11
	v_mul_f16_e32 v51, 0x3b9c, v51
	v_fmac_f16_e32 v6, 0x3b9c, v4
	v_fmac_f16_e32 v18, 0x38b4, v16
	v_lshl_add_u32 v12, v12, 1, 0
	v_add_f16_e32 v58, v47, v8
	v_fmac_f16_e32 v17, 0x3a79, v10
	v_sub_f16_e32 v15, v27, v15
	v_sub_f16_e32 v9, v33, v9
	;; [unrolled: 1-line block ×4, first 2 shown]
	v_fmac_f16_e32 v51, 0x34f2, v22
	v_add_f16_e32 v22, v5, v6
	v_add_f16_e32 v71, v62, v18
	v_sub_f16_e32 v5, v5, v6
	v_sub_f16_e32 v6, v62, v18
	v_pack_b32_f16 v18, v46, v48
	v_pack_b32_f16 v27, v43, v45
	;; [unrolled: 1-line block ×3, first 2 shown]
	v_add_nc_u32_e32 v70, 0xca8, v12
	v_pack_b32_f16 v19, v19, v20
	v_pack_b32_f16 v13, v13, v14
	v_add_f16_e32 v10, v31, v17
	v_sub_f16_e32 v17, v31, v17
	v_pack_b32_f16 v31, v53, v57
	v_pack_b32_f16 v33, v50, v52
	v_add_nc_u32_e32 v14, 0xcb0, v12
	v_pack_b32_f16 v9, v9, v11
	v_pack_b32_f16 v11, v58, v15
	;; [unrolled: 1-line block ×4, first 2 shown]
	v_add_nc_u32_e32 v61, 0x65c, v12
	v_pack_b32_f16 v28, v28, v30
	v_add_nc_u32_e32 v76, 0x654, v12
	v_pack_b32_f16 v41, v41, v42
	v_pack_b32_f16 v23, v23, v32
	;; [unrolled: 1-line block ×3, first 2 shown]
	ds_store_2addr_b32 v12, v27, v18 offset1:1
	ds_store_2addr_b32 v12, v33, v31 offset0:2 offset1:3
	ds_store_b32 v12, v43 offset:16
	ds_store_b32 v12, v23 offset:1636
	ds_store_2addr_b32 v70, v13, v19 offset1:1
	ds_store_2addr_b32 v14, v11, v9 offset1:1
	;; [unrolled: 1-line block ×4, first 2 shown]
	ds_store_b32 v12, v1 offset:3256
	v_mad_i32_i24 v1, 0xffffffee, v0, v12
	v_pack_b32_f16 v8, v36, v37
	v_pack_b32_f16 v9, v26, v34
	;; [unrolled: 1-line block ×6, first 2 shown]
	v_add_f16_e32 v4, v7, v21
	v_add_f16_e32 v16, v49, v51
	v_sub_f16_e32 v7, v21, v7
	v_sub_f16_e32 v21, v49, v51
	global_wb scope:SCOPE_SE
	s_wait_dscnt 0x0
	s_barrier_signal -1
	s_barrier_wait -1
	global_inv scope:SCOPE_SE
	ds_load_u16 v55, v1 offset:3564
	ds_load_u16 v52, v1 offset:3726
	;; [unrolled: 1-line block ×6, first 2 shown]
	ds_load_u16 v42, v1
	ds_load_u16 v41, v1 offset:162
	ds_load_u16 v33, v1 offset:324
	;; [unrolled: 1-line block ×23, first 2 shown]
	global_wb scope:SCOPE_SE
	s_wait_dscnt 0x0
	s_barrier_signal -1
	s_barrier_wait -1
	global_inv scope:SCOPE_SE
	ds_store_2addr_b32 v12, v9, v8 offset1:1
	ds_store_2addr_b32 v12, v15, v13 offset0:2 offset1:3
	ds_store_b32 v12, v19 offset:16
	ds_store_b32 v12, v20 offset:1636
	v_add_nc_u32_e32 v20, 0x51, v0
	v_and_b32_e32 v18, 0xff, v0
	v_pack_b32_f16 v8, v16, v22
	v_pack_b32_f16 v4, v4, v10
	v_pack_b32_f16 v10, v17, v21
	v_and_b32_e32 v19, 0xff, v20
	v_mul_lo_u16 v11, 0xcd, v18
	v_pack_b32_f16 v7, v71, v7
	ds_store_2addr_b32 v70, v4, v8 offset1:1
	v_pack_b32_f16 v34, v75, v67
	v_mul_lo_u16 v4, 0xcd, v19
	v_lshrrev_b16 v44, 11, v11
	v_pack_b32_f16 v11, v24, v72
	v_pack_b32_f16 v24, v69, v66
	;; [unrolled: 1-line block ×4, first 2 shown]
	ds_store_2addr_b32 v14, v7, v10 offset1:1
	ds_store_2addr_b32 v61, v34, v24 offset1:1
	;; [unrolled: 1-line block ×3, first 2 shown]
	ds_store_b32 v12, v5 offset:3256
	v_lshrrev_b16 v61, 11, v4
	v_add_nc_u32_e32 v21, 0xa2, v0
	v_add_nc_u32_e32 v36, 0xf3, v0
	v_mul_lo_u16 v25, v44, 10
	v_add_nc_u32_e32 v37, 0x144, v0
	v_mul_lo_u16 v5, v61, 10
	v_and_b32_e32 v14, 0xff, v21
	v_and_b32_e32 v15, 0xffff, v36
	v_sub_nc_u16 v9, v0, v25
	v_and_b32_e32 v16, 0xffff, v37
	v_sub_nc_u16 v6, v20, v5
	v_mul_lo_u16 v7, 0xcd, v14
	v_add_nc_u32_e32 v35, 0x195, v0
	v_and_b32_e32 v60, 0xff, v9
	v_mul_u32_u24_e32 v10, 0xcccd, v16
	v_and_b32_e32 v68, 0xff, v6
	v_lshrrev_b16 v66, 11, v7
	v_mul_u32_u24_e32 v6, 0xcccd, v15
	v_and_b32_e32 v17, 0xffff, v35
	v_lshrrev_b32_e32 v69, 19, v10
	v_lshlrev_b32_e32 v4, 3, v60
	v_mul_lo_u16 v8, v66, 10
	v_lshrrev_b32_e32 v67, 19, v6
	v_mul_u32_u24_e32 v11, 0xcccd, v17
	v_lshlrev_b32_e32 v7, 3, v68
	v_mul_lo_u16 v10, v69, 10
	v_sub_nc_u16 v8, v21, v8
	v_mul_lo_u16 v9, v67, 10
	v_lshrrev_b32_e32 v70, 19, v11
	global_wb scope:SCOPE_SE
	s_wait_dscnt 0x0
	s_barrier_signal -1
	v_and_b32_e32 v71, 0xff, v8
	v_sub_nc_u16 v8, v36, v9
	s_barrier_wait -1
	global_inv scope:SCOPE_SE
	s_clause 0x1
	global_load_b64 v[4:5], v4, s[4:5]
	global_load_b64 v[6:7], v7, s[4:5]
	v_and_b32_e32 v72, 0xffff, v8
	v_lshlrev_b32_e32 v9, 3, v71
	v_sub_nc_u16 v13, v37, v10
	v_add_nc_u32_e32 v38, 0x237, v0
	v_add_nc_u32_e32 v34, 0x1e6, v0
	v_lshlrev_b32_e32 v12, 3, v72
	global_load_b64 v[8:9], v9, s[4:5]
	v_and_b32_e32 v73, 0xffff, v13
	v_and_b32_e32 v24, 0xffff, v38
	;; [unrolled: 1-line block ×3, first 2 shown]
	global_load_b64 v[10:11], v12, s[4:5]
	v_mul_lo_u16 v12, v70, 10
	v_lshlrev_b32_e32 v25, 3, v73
	v_add_nc_u32_e32 v39, 0x288, v0
	v_mul_u32_u24_e32 v13, 0xcccd, v22
	v_and_b32_e32 v44, 0xffff, v44
	v_sub_nc_u16 v26, v35, v12
	s_delay_alu instid0(VALU_DEP_3) | instskip(SKIP_4) | instid1(VALU_DEP_3)
	v_lshrrev_b32_e32 v74, 19, v13
	global_load_b64 v[12:13], v25, s[4:5]
	v_and_b32_e32 v75, 0xffff, v26
	v_mul_u32_u24_e32 v26, 0xcccd, v24
	v_mul_u32_u24_e32 v44, 60, v44
	v_lshlrev_b32_e32 v40, 3, v75
	s_delay_alu instid0(VALU_DEP_3) | instskip(SKIP_2) | instid1(VALU_DEP_1)
	v_lshrrev_b32_e32 v76, 19, v26
	global_load_b64 v[84:85], v40, s[4:5]
	v_mul_lo_u16 v26, v76, 10
	v_sub_nc_u16 v79, v38, v26
	s_delay_alu instid0(VALU_DEP_1) | instskip(NEXT) | instid1(VALU_DEP_1)
	v_and_b32_e32 v82, 0xffff, v79
	v_lshlrev_b32_e32 v81, 3, v82
	global_load_b64 v[88:89], v81, s[4:5]
	v_mul_lo_u16 v25, v74, 10
	v_add_nc_u32_e32 v40, 0x2d9, v0
	s_delay_alu instid0(VALU_DEP_2) | instskip(SKIP_1) | instid1(VALU_DEP_3)
	v_sub_nc_u16 v77, v34, v25
	v_and_b32_e32 v25, 0xffff, v39
	v_and_b32_e32 v26, 0xffff, v40
	s_delay_alu instid0(VALU_DEP_3) | instskip(NEXT) | instid1(VALU_DEP_3)
	v_and_b32_e32 v77, 0xffff, v77
	v_mul_u32_u24_e32 v78, 0xcccd, v25
	s_delay_alu instid0(VALU_DEP_2) | instskip(NEXT) | instid1(VALU_DEP_2)
	v_lshlrev_b32_e32 v80, 3, v77
	v_lshrrev_b32_e32 v78, 19, v78
	global_load_b64 v[86:87], v80, s[4:5]
	v_mul_lo_u16 v79, v78, 10
	v_mul_u32_u24_e32 v80, 0xcccd, v26
	s_delay_alu instid0(VALU_DEP_2) | instskip(NEXT) | instid1(VALU_DEP_2)
	v_sub_nc_u16 v83, v39, v79
	v_lshrrev_b32_e32 v79, 19, v80
	s_delay_alu instid0(VALU_DEP_2) | instskip(NEXT) | instid1(VALU_DEP_2)
	v_and_b32_e32 v80, 0xffff, v83
	v_mul_lo_u16 v81, v79, 10
	s_delay_alu instid0(VALU_DEP_2) | instskip(NEXT) | instid1(VALU_DEP_2)
	v_lshlrev_b32_e32 v83, 3, v80
	v_sub_nc_u16 v81, v40, v81
	global_load_b64 v[90:91], v83, s[4:5]
	v_and_b32_e32 v81, 0xffff, v81
	s_delay_alu instid0(VALU_DEP_1)
	v_lshlrev_b32_e32 v83, 3, v81
	global_load_b64 v[92:93], v83, s[4:5]
	ds_load_u16 v94, v1 offset:1620
	ds_load_u16 v95, v1 offset:3240
	;; [unrolled: 1-line block ×15, first 2 shown]
	s_wait_loadcnt 0x9
	v_lshrrev_b32_e32 v96, 16, v4
	v_lshrrev_b32_e32 v104, 16, v5
	s_wait_dscnt 0xe
	s_delay_alu instid0(VALU_DEP_2) | instskip(SKIP_3) | instid1(VALU_DEP_3)
	v_mul_f16_e32 v102, v94, v96
	v_mul_f16_e32 v96, v65, v96
	s_wait_dscnt 0xd
	v_mul_f16_e32 v111, v95, v104
	v_fmac_f16_e32 v102, v65, v4
	s_wait_loadcnt 0x8
	v_lshrrev_b32_e32 v65, 16, v6
	v_fma_f16 v4, v94, v4, -v96
	v_mul_f16_e32 v94, v64, v104
	v_lshrrev_b32_e32 v104, 16, v7
	v_fmac_f16_e32 v111, v64, v5
	s_wait_dscnt 0xc
	v_mul_f16_e32 v96, v97, v65
	v_mul_f16_e32 v64, v63, v65
	s_wait_loadcnt 0x7
	v_lshrrev_b32_e32 v65, 16, v8
	v_fma_f16 v5, v95, v5, -v94
	v_lshrrev_b32_e32 v94, 16, v9
	v_fmac_f16_e32 v96, v63, v6
	s_wait_dscnt 0x6
	v_mul_f16_e32 v63, v103, v104
	v_fma_f16 v6, v97, v6, -v64
	v_mul_f16_e32 v64, v62, v104
	v_mul_f16_e32 v95, v98, v65
	s_delay_alu instid0(VALU_DEP_4) | instskip(SKIP_1) | instid1(VALU_DEP_4)
	v_fmac_f16_e32 v63, v62, v7
	v_mul_f16_e32 v62, v58, v65
	v_fma_f16 v7, v103, v7, -v64
	s_wait_dscnt 0x5
	v_mul_f16_e32 v64, v105, v94
	s_wait_loadcnt 0x6
	v_lshrrev_b32_e32 v65, 16, v10
	v_fmac_f16_e32 v95, v58, v8
	v_mul_f16_e32 v58, v55, v94
	v_fma_f16 v8, v98, v8, -v62
	v_fmac_f16_e32 v64, v55, v9
	v_mul_f16_e32 v94, v99, v65
	v_lshrrev_b32_e32 v55, 16, v11
	v_fma_f16 v9, v105, v9, -v58
	v_mul_f16_e32 v58, v56, v65
	ds_load_u16 v62, v1 offset:3888
	v_fmac_f16_e32 v94, v56, v10
	s_wait_loadcnt 0x5
	v_lshrrev_b32_e32 v56, 16, v12
	s_wait_dscnt 0x5
	v_mul_f16_e32 v65, v106, v55
	v_fma_f16 v10, v99, v10, -v58
	ds_load_u16 v58, v1 offset:4050
	v_mul_f16_e32 v55, v52, v55
	v_mul_f16_e32 v97, v100, v56
	v_fmac_f16_e32 v65, v52, v11
	v_mul_f16_e32 v52, v53, v56
	ds_load_u16 v56, v1 offset:4212
	ds_load_u16 v98, v1 offset:4374
	;; [unrolled: 1-line block ×4, first 2 shown]
	v_fma_f16 v11, v106, v11, -v55
	v_fmac_f16_e32 v97, v53, v12
	s_wait_loadcnt 0x4
	v_lshrrev_b32_e32 v53, 16, v84
	v_fma_f16 v12, v100, v12, -v52
	v_lshrrev_b32_e32 v52, 16, v85
	v_lshrrev_b32_e32 v55, 16, v13
	s_delay_alu instid0(VALU_DEP_4) | instskip(SKIP_2) | instid1(VALU_DEP_3)
	v_mul_f16_e32 v100, v101, v53
	v_mul_f16_e32 v53, v48, v53
	s_wait_dscnt 0x5
	v_mul_f16_e32 v104, v62, v55
	v_mul_f16_e32 v55, v59, v55
	v_fmac_f16_e32 v100, v48, v84
	v_fma_f16 v84, v101, v84, -v53
	s_wait_dscnt 0x4
	v_mul_f16_e32 v105, v58, v52
	v_mul_f16_e32 v52, v57, v52
	v_fmac_f16_e32 v104, v59, v13
	v_fma_f16 v13, v62, v13, -v55
	s_delay_alu instid0(VALU_DEP_4) | instskip(NEXT) | instid1(VALU_DEP_4)
	v_fmac_f16_e32 v105, v57, v85
	v_fma_f16 v85, v58, v85, -v52
	s_wait_loadcnt 0x3
	v_lshrrev_b32_e32 v52, 16, v88
	s_wait_loadcnt 0x2
	v_lshrrev_b32_e32 v48, 16, v86
	v_lshrrev_b32_e32 v53, 16, v87
	s_delay_alu instid0(VALU_DEP_2) | instskip(SKIP_2) | instid1(VALU_DEP_3)
	v_mul_f16_e32 v101, v107, v48
	v_mul_f16_e32 v48, v51, v48
	s_wait_dscnt 0x3
	v_mul_f16_e32 v106, v56, v53
	s_delay_alu instid0(VALU_DEP_3)
	v_fmac_f16_e32 v101, v51, v86
	v_mul_f16_e32 v51, v54, v53
	v_fma_f16 v86, v107, v86, -v48
	v_mul_f16_e32 v107, v108, v52
	v_fmac_f16_e32 v106, v54, v87
	v_lshrrev_b32_e32 v48, 16, v89
	v_fma_f16 v87, v56, v87, -v51
	v_mul_f16_e32 v51, v49, v52
	v_fmac_f16_e32 v107, v49, v88
	v_add_f16_e32 v52, v97, v104
	s_wait_dscnt 0x2
	v_mul_f16_e32 v112, v98, v48
	s_wait_loadcnt 0x1
	v_lshrrev_b32_e32 v49, 16, v90
	v_mul_f16_e32 v48, v50, v48
	v_fma_f16 v88, v108, v88, -v51
	v_lshrrev_b32_e32 v51, 16, v91
	v_fmac_f16_e32 v112, v50, v89
	v_mul_f16_e32 v108, v109, v49
	v_fma_f16 v89, v98, v89, -v48
	v_mul_f16_e32 v48, v46, v49
	s_wait_dscnt 0x1
	v_mul_f16_e32 v98, v99, v51
	v_add_f16_e32 v50, v33, v95
	v_fmac_f16_e32 v108, v46, v90
	v_mul_f16_e32 v46, v47, v51
	s_wait_loadcnt 0x0
	v_lshrrev_b32_e32 v49, 16, v92
	v_fma_f16 v90, v109, v90, -v48
	v_fmac_f16_e32 v98, v47, v91
	v_lshrrev_b32_e32 v47, 16, v93
	v_fma_f16 v91, v99, v91, -v46
	v_mul_f16_e32 v99, v110, v49
	ds_load_u16 v109, v1
	v_mul_f16_e32 v46, v43, v49
	s_wait_dscnt 0x1
	v_mul_f16_e32 v113, v103, v47
	v_mul_f16_e32 v47, v45, v47
	v_fmac_f16_e32 v99, v43, v92
	v_add_f16_e32 v43, v102, v111
	v_fma_f16 v92, v110, v92, -v46
	v_fmac_f16_e32 v113, v45, v93
	v_add_f16_e32 v45, v42, v102
	v_sub_f16_e32 v46, v4, v5
	v_fmac_f16_e32 v42, -0.5, v43
	v_fma_f16 v93, v103, v93, -v47
	v_add_f16_e32 v43, v4, v5
	v_add_f16_e32 v48, v95, v64
	;; [unrolled: 1-line block ×3, first 2 shown]
	v_fmamk_f16 v47, v46, 0xbaee, v42
	v_fmac_f16_e32 v42, 0x3aee, v46
	v_add_f16_e32 v46, v96, v63
	v_add_f16_e32 v49, v41, v96
	v_fmac_f16_e32 v33, -0.5, v48
	s_wait_dscnt 0x0
	v_add_f16_e32 v4, v109, v4
	v_fmac_f16_e32 v109, -0.5, v43
	v_add_f16_e32 v43, v45, v111
	v_sub_f16_e32 v45, v102, v111
	v_fmac_f16_e32 v41, -0.5, v46
	v_sub_f16_e32 v46, v6, v7
	v_sub_f16_e32 v48, v8, v9
	v_add_f16_e32 v53, v32, v94
	v_fmac_f16_e32 v32, -0.5, v51
	v_sub_f16_e32 v51, v10, v11
	v_add_f16_e32 v4, v4, v5
	v_fmamk_f16 v5, v45, 0x3aee, v109
	v_fmac_f16_e32 v109, 0xbaee, v45
	v_fmamk_f16 v45, v46, 0xbaee, v41
	v_fmac_f16_e32 v41, 0x3aee, v46
	v_fmamk_f16 v46, v48, 0xbaee, v33
	v_add_f16_e32 v54, v31, v97
	v_fmac_f16_e32 v31, -0.5, v52
	v_sub_f16_e32 v52, v12, v13
	v_fmac_f16_e32 v33, 0x3aee, v48
	v_fmamk_f16 v48, v51, 0xbaee, v32
	v_fmac_f16_e32 v32, 0x3aee, v51
	v_add_f16_e32 v51, v100, v105
	v_add_f16_e32 v56, v101, v106
	;; [unrolled: 1-line block ×3, first 2 shown]
	v_fmamk_f16 v55, v52, 0xbaee, v31
	v_fmac_f16_e32 v31, 0x3aee, v52
	v_add_f16_e32 v52, v30, v100
	v_fmac_f16_e32 v30, -0.5, v51
	v_sub_f16_e32 v51, v84, v85
	v_add_f16_e32 v58, v29, v101
	v_fmac_f16_e32 v29, -0.5, v56
	v_sub_f16_e32 v56, v86, v87
	;; [unrolled: 3-line block ×3, first 2 shown]
	v_fmamk_f16 v62, v51, 0xbaee, v30
	v_fmac_f16_e32 v30, 0x3aee, v51
	v_fmamk_f16 v51, v56, 0xbaee, v29
	v_fmac_f16_e32 v29, 0x3aee, v56
	;; [unrolled: 2-line block ×3, first 2 shown]
	v_add_f16_e32 v57, v108, v98
	v_add_f16_e32 v102, v27, v108
	;; [unrolled: 1-line block ×3, first 2 shown]
	ds_load_u16 v103, v1 offset:162
	ds_load_u16 v110, v1 offset:324
	;; [unrolled: 1-line block ×8, first 2 shown]
	v_fmac_f16_e32 v27, -0.5, v57
	v_sub_f16_e32 v57, v90, v91
	global_wb scope:SCOPE_SE
	s_wait_dscnt 0x0
	s_barrier_signal -1
	s_barrier_wait -1
	global_inv scope:SCOPE_SE
	v_fmamk_f16 v111, v57, 0xbaee, v27
	v_fmac_f16_e32 v27, 0x3aee, v57
	v_add_f16_e32 v57, v99, v113
	s_delay_alu instid0(VALU_DEP_1) | instskip(SKIP_1) | instid1(VALU_DEP_1)
	v_fmac_f16_e32 v28, -0.5, v57
	v_sub_f16_e32 v57, v92, v93
	v_fmamk_f16 v120, v57, 0xbaee, v28
	v_fmac_f16_e32 v28, 0x3aee, v57
	v_lshlrev_b32_e32 v57, 1, v60
	s_delay_alu instid0(VALU_DEP_1)
	v_add3_u32 v121, 0, v44, v57
	v_and_b32_e32 v44, 0xffff, v61
	v_lshlrev_b32_e32 v57, 1, v68
	ds_store_b16 v121, v43
	ds_store_b16 v121, v47 offset:20
	v_mul_u32_u24_e32 v44, 60, v44
	v_and_b32_e32 v43, 0xffff, v66
	ds_store_b16 v121, v42 offset:40
	v_add_f16_e32 v42, v49, v63
	v_lshlrev_b32_e32 v47, 1, v72
	v_add3_u32 v68, 0, v44, v57
	v_lshlrev_b32_e32 v44, 1, v71
	v_mul_u32_u24_e32 v43, 60, v43
	v_mul_u32_u24_e32 v49, 60, v67
	ds_store_b16 v68, v42
	ds_store_b16 v68, v45 offset:20
	ds_store_b16 v68, v41 offset:40
	v_add_f16_e32 v41, v50, v64
	v_add3_u32 v66, 0, v43, v44
	v_add3_u32 v67, 0, v49, v47
	v_lshlrev_b32_e32 v42, 1, v73
	v_mul_u32_u24_e32 v43, 60, v69
	v_add_f16_e32 v44, v53, v65
	ds_store_b16 v66, v41
	ds_store_b16 v66, v46 offset:20
	ds_store_b16 v66, v33 offset:40
	v_lshlrev_b32_e32 v33, 1, v75
	v_mul_u32_u24_e32 v41, 60, v70
	v_add3_u32 v69, 0, v43, v42
	ds_store_b16 v67, v44
	ds_store_b16 v67, v48 offset:20
	ds_store_b16 v67, v32 offset:40
	v_add_f16_e32 v32, v54, v104
	v_add_f16_e32 v42, v52, v105
	v_add3_u32 v70, 0, v41, v33
	v_lshlrev_b32_e32 v33, 1, v77
	v_mul_u32_u24_e32 v41, 60, v74
	ds_store_b16 v69, v32
	ds_store_b16 v69, v55 offset:20
	ds_store_b16 v69, v31 offset:40
	v_lshlrev_b32_e32 v31, 1, v82
	v_mul_u32_u24_e32 v32, 60, v76
	ds_store_b16 v70, v42
	ds_store_b16 v70, v62 offset:20
	ds_store_b16 v70, v30 offset:40
	v_add3_u32 v71, 0, v41, v33
	v_add_f16_e32 v30, v58, v106
	v_add_f16_e32 v75, v6, v7
	v_add3_u32 v72, 0, v32, v31
	v_lshlrev_b32_e32 v31, 1, v80
	v_mul_u32_u24_e32 v32, 60, v78
	v_lshlrev_b32_e32 v33, 1, v81
	v_mul_u32_u24_e32 v41, 60, v79
	ds_store_b16 v71, v30
	ds_store_b16 v71, v51 offset:20
	ds_store_b16 v71, v29 offset:40
	v_add_f16_e32 v29, v59, v112
	v_add_f16_e32 v6, v103, v6
	v_fmac_f16_e32 v103, -0.5, v75
	v_sub_f16_e32 v63, v96, v63
	v_add3_u32 v73, 0, v32, v31
	v_add_f16_e32 v30, v102, v98
	v_add_f16_e32 v31, v119, v113
	v_add3_u32 v74, 0, v41, v33
	ds_store_b16 v72, v29
	ds_store_b16 v72, v56 offset:20
	ds_store_b16 v72, v23 offset:40
	ds_store_b16 v73, v30
	ds_store_b16 v73, v111 offset:20
	ds_store_b16 v73, v27 offset:40
	;; [unrolled: 3-line block ×3, first 2 shown]
	global_wb scope:SCOPE_SE
	s_wait_dscnt 0x0
	s_barrier_signal -1
	s_barrier_wait -1
	global_inv scope:SCOPE_SE
	ds_load_u16 v53, v1 offset:3564
	ds_load_u16 v50, v1 offset:3726
	;; [unrolled: 1-line block ×6, first 2 shown]
	ds_load_u16 v42, v1
	ds_load_u16 v41, v1 offset:162
	ds_load_u16 v33, v1 offset:324
	;; [unrolled: 1-line block ×23, first 2 shown]
	global_wb scope:SCOPE_SE
	s_wait_dscnt 0x0
	s_barrier_signal -1
	s_barrier_wait -1
	global_inv scope:SCOPE_SE
	v_add_f16_e32 v6, v6, v7
	ds_store_b16 v121, v4
	ds_store_b16 v121, v5 offset:20
	ds_store_b16 v121, v109 offset:40
	v_add_f16_e32 v4, v8, v9
	v_add_f16_e32 v5, v10, v11
	v_fmamk_f16 v7, v63, 0x3aee, v103
	v_fmac_f16_e32 v103, 0xbaee, v63
	ds_store_b16 v68, v6
	ds_store_b16 v68, v7 offset:20
	ds_store_b16 v68, v103 offset:40
	v_add_f16_e32 v6, v110, v8
	v_fmac_f16_e32 v110, -0.5, v4
	v_sub_f16_e32 v4, v95, v64
	v_add_f16_e32 v7, v114, v10
	v_fmac_f16_e32 v114, -0.5, v5
	v_sub_f16_e32 v5, v94, v65
	v_add_f16_e32 v6, v6, v9
	v_fmamk_f16 v8, v4, 0x3aee, v110
	v_fmac_f16_e32 v110, 0xbaee, v4
	v_add_f16_e32 v4, v7, v11
	v_add_f16_e32 v7, v12, v13
	v_fmamk_f16 v9, v5, 0x3aee, v114
	v_fmac_f16_e32 v114, 0xbaee, v5
	v_add_f16_e32 v5, v84, v85
	v_add_f16_e32 v10, v115, v12
	v_fmac_f16_e32 v115, -0.5, v7
	v_sub_f16_e32 v7, v97, v104
	v_add_f16_e32 v11, v116, v84
	v_fmac_f16_e32 v116, -0.5, v5
	v_sub_f16_e32 v5, v100, v105
	v_add_f16_e32 v10, v10, v13
	v_fmamk_f16 v12, v7, 0x3aee, v115
	v_fmac_f16_e32 v115, 0xbaee, v7
	v_add_f16_e32 v7, v11, v85
	v_add_f16_e32 v11, v86, v87
	v_fmamk_f16 v13, v5, 0x3aee, v116
	v_fmac_f16_e32 v116, 0xbaee, v5
	v_add_f16_e32 v5, v88, v89
	;; [unrolled: 14-line block ×3, first 2 shown]
	v_add_f16_e32 v76, v83, v92
	v_fmac_f16_e32 v122, -0.5, v64
	v_sub_f16_e32 v64, v108, v98
	ds_store_b16 v66, v6
	ds_store_b16 v66, v8 offset:20
	ds_store_b16 v66, v110 offset:40
	ds_store_b16 v67, v4
	ds_store_b16 v67, v9 offset:20
	ds_store_b16 v67, v114 offset:40
	v_fmac_f16_e32 v83, -0.5, v5
	v_sub_f16_e32 v5, v99, v113
	v_add_f16_e32 v63, v63, v87
	v_fmamk_f16 v77, v64, 0x3aee, v122
	v_fmac_f16_e32 v122, 0xbaee, v64
	v_add_f16_e32 v64, v76, v93
	v_fmamk_f16 v76, v5, 0x3aee, v83
	v_fmac_f16_e32 v83, 0xbaee, v5
	v_mul_lo_u16 v5, 0x89, v18
	ds_store_b16 v69, v10
	ds_store_b16 v69, v12 offset:20
	ds_store_b16 v69, v115 offset:40
	ds_store_b16 v70, v7
	ds_store_b16 v70, v13 offset:20
	ds_store_b16 v70, v116 offset:40
	ds_store_b16 v71, v63
	ds_store_b16 v71, v65 offset:20
	ds_store_b16 v71, v117 offset:40
	ds_store_b16 v72, v11
	ds_store_b16 v72, v68 offset:20
	ds_store_b16 v72, v118 offset:40
	v_mul_u32_u24_e32 v10, 0x8889, v16
	v_mul_lo_u16 v7, 0x89, v14
	v_lshrrev_b16 v18, 12, v5
	v_mul_lo_u16 v5, 0x89, v19
	v_add_f16_e32 v75, v75, v91
	v_lshrrev_b32_e32 v67, 20, v10
	v_lshrrev_b16 v65, 12, v7
	v_mul_lo_u16 v4, v18, 30
	v_lshrrev_b16 v19, 12, v5
	ds_store_b16 v73, v75
	ds_store_b16 v73, v77 offset:20
	ds_store_b16 v73, v122 offset:40
	v_mul_lo_u16 v10, v67, 30
	ds_store_b16 v74, v64
	ds_store_b16 v74, v76 offset:20
	ds_store_b16 v74, v83 offset:40
	v_sub_nc_u16 v4, v0, v4
	global_wb scope:SCOPE_SE
	s_wait_dscnt 0x0
	s_barrier_signal -1
	s_barrier_wait -1
	global_inv scope:SCOPE_SE
	v_and_b32_e32 v63, 0xff, v4
	v_mul_lo_u16 v4, v19, 30
	v_mul_lo_u16 v8, v65, 30
	v_sub_nc_u16 v13, v37, v10
	v_mul_u32_u24_e32 v11, 0x8889, v17
	v_lshlrev_b32_e32 v5, 3, v63
	v_sub_nc_u16 v6, v20, v4
	v_sub_nc_u16 v8, v21, v8
	v_and_b32_e32 v72, 0xffff, v13
	v_mul_u32_u24_e32 v13, 0x8889, v22
	global_load_b64 v[4:5], v5, s[4:5] offset:80
	v_and_b32_e32 v66, 0xff, v6
	v_mul_u32_u24_e32 v6, 0x8889, v15
	v_and_b32_e32 v71, 0xff, v8
	v_lshrrev_b32_e32 v70, 20, v13
	v_lshrrev_b32_e32 v68, 20, v11
	v_lshlrev_b32_e32 v7, 3, v66
	v_lshrrev_b32_e32 v64, 20, v6
	v_mul_u32_u24_e32 v78, 0x8889, v25
	v_mul_lo_u16 v75, v70, 30
	v_lshlrev_b32_e32 v73, 3, v72
	global_load_b64 v[6:7], v7, s[4:5] offset:80
	v_mul_lo_u16 v9, v64, 30
	v_mul_u32_u24_e32 v80, 0x8889, v26
	v_sub_nc_u16 v75, v34, v75
	v_and_b32_e32 v18, 0xffff, v18
	v_and_b32_e32 v19, 0xffff, v19
	v_sub_nc_u16 v8, v36, v9
	v_lshlrev_b32_e32 v9, 3, v71
	v_and_b32_e32 v77, 0xffff, v75
	v_lshrrev_b32_e32 v75, 20, v78
	v_mul_u32_u24_e32 v18, 0xb4, v18
	v_and_b32_e32 v69, 0xffff, v8
	global_load_b64 v[8:9], v9, s[4:5] offset:80
	v_lshlrev_b32_e32 v78, 3, v77
	v_mul_lo_u16 v79, v75, 30
	v_mul_u32_u24_e32 v19, 0xb4, v19
	v_lshlrev_b32_e32 v12, 3, v69
	v_mul_u32_u24_e32 v17, 0x2d83, v17
	global_load_b64 v[84:85], v78, s[4:5] offset:80
	v_sub_nc_u16 v79, v39, v79
	v_lshrrev_b32_e32 v78, 20, v80
	global_load_b64 v[10:11], v12, s[4:5] offset:80
	v_mul_lo_u16 v12, v68, 30
	v_and_b32_e32 v79, 0xffff, v79
	v_mul_lo_u16 v80, v78, 30
	s_delay_alu instid0(VALU_DEP_3) | instskip(SKIP_4) | instid1(VALU_DEP_3)
	v_sub_nc_u16 v74, v35, v12
	global_load_b64 v[12:13], v73, s[4:5] offset:80
	v_sub_nc_u16 v80, v40, v80
	v_and_b32_e32 v73, 0xffff, v74
	v_mul_u32_u24_e32 v74, 0x8889, v24
	v_and_b32_e32 v80, 0xffff, v80
	s_delay_alu instid0(VALU_DEP_3) | instskip(NEXT) | instid1(VALU_DEP_3)
	v_lshlrev_b32_e32 v76, 3, v73
	v_lshrrev_b32_e32 v74, 20, v74
	global_load_b64 v[82:83], v76, s[4:5] offset:80
	v_mul_lo_u16 v76, v74, 30
	s_delay_alu instid0(VALU_DEP_1) | instskip(NEXT) | instid1(VALU_DEP_1)
	v_sub_nc_u16 v76, v38, v76
	v_and_b32_e32 v76, 0xffff, v76
	s_delay_alu instid0(VALU_DEP_1)
	v_lshlrev_b32_e32 v81, 3, v76
	global_load_b64 v[86:87], v81, s[4:5] offset:80
	v_lshlrev_b32_e32 v81, 3, v79
	global_load_b64 v[88:89], v81, s[4:5] offset:80
	v_lshlrev_b32_e32 v81, 3, v80
	global_load_b64 v[90:91], v81, s[4:5] offset:80
	ds_load_u16 v92, v1 offset:1620
	ds_load_u16 v93, v1 offset:3240
	;; [unrolled: 1-line block ×15, first 2 shown]
	s_wait_loadcnt 0x9
	v_lshrrev_b32_e32 v94, 16, v4
	v_lshrrev_b32_e32 v102, 16, v5
	s_wait_dscnt 0xe
	s_delay_alu instid0(VALU_DEP_2) | instskip(SKIP_3) | instid1(VALU_DEP_3)
	v_mul_f16_e32 v100, v92, v94
	v_mul_f16_e32 v94, v62, v94
	s_wait_dscnt 0xd
	v_mul_f16_e32 v109, v93, v102
	v_fmac_f16_e32 v100, v62, v4
	s_wait_loadcnt 0x8
	v_lshrrev_b32_e32 v62, 16, v6
	v_fma_f16 v4, v92, v4, -v94
	v_mul_f16_e32 v92, v61, v102
	v_lshrrev_b32_e32 v102, 16, v7
	v_fmac_f16_e32 v109, v61, v5
	s_wait_dscnt 0xc
	v_mul_f16_e32 v94, v95, v62
	v_mul_f16_e32 v61, v60, v62
	v_fma_f16 v5, v93, v5, -v92
	s_wait_dscnt 0x6
	v_mul_f16_e32 v92, v101, v102
	v_fmac_f16_e32 v94, v60, v6
	v_fma_f16 v6, v95, v6, -v61
	s_wait_loadcnt 0x7
	v_lshrrev_b32_e32 v60, 16, v8
	v_mul_f16_e32 v61, v59, v102
	v_lshrrev_b32_e32 v62, 16, v9
	v_fmac_f16_e32 v92, v59, v7
	s_delay_alu instid0(VALU_DEP_4)
	v_mul_f16_e32 v59, v96, v60
	v_mul_f16_e32 v60, v56, v60
	v_fma_f16 v7, v101, v7, -v61
	s_wait_dscnt 0x5
	v_mul_f16_e32 v93, v103, v62
	s_wait_loadcnt 0x5
	v_lshrrev_b32_e32 v61, 16, v10
	v_fmac_f16_e32 v59, v56, v8
	v_mul_f16_e32 v56, v53, v62
	v_fma_f16 v8, v96, v8, -v60
	v_fmac_f16_e32 v93, v53, v9
	v_mul_f16_e32 v95, v97, v61
	ds_load_u16 v60, v1 offset:3888
	v_fma_f16 v9, v103, v9, -v56
	v_mul_f16_e32 v56, v54, v61
	v_lshrrev_b32_e32 v53, 16, v11
	v_fmac_f16_e32 v95, v54, v10
	s_wait_loadcnt 0x4
	v_lshrrev_b32_e32 v54, 16, v12
	v_fma_f16 v10, v97, v10, -v56
	ds_load_u16 v56, v1 offset:4050
	s_wait_dscnt 0x6
	v_mul_f16_e32 v96, v104, v53
	v_mul_f16_e32 v53, v50, v53
	;; [unrolled: 1-line block ×3, first 2 shown]
	s_delay_alu instid0(VALU_DEP_3) | instskip(NEXT) | instid1(VALU_DEP_3)
	v_fmac_f16_e32 v96, v50, v11
	v_fma_f16 v11, v104, v11, -v53
	v_mul_f16_e32 v50, v51, v54
	v_lshrrev_b32_e32 v53, 16, v13
	v_fmac_f16_e32 v97, v51, v12
	s_wait_loadcnt 0x3
	v_lshrrev_b32_e32 v51, 16, v82
	ds_load_u16 v54, v1 offset:4212
	ds_load_u16 v61, v1 offset:4374
	;; [unrolled: 1-line block ×4, first 2 shown]
	v_fma_f16 v12, v98, v12, -v50
	s_wait_dscnt 0x5
	v_mul_f16_e32 v102, v60, v53
	v_mul_f16_e32 v50, v58, v53
	v_lshrrev_b32_e32 v53, 16, v83
	v_mul_f16_e32 v98, v99, v51
	v_mul_f16_e32 v51, v47, v51
	v_fmac_f16_e32 v102, v58, v13
	v_fma_f16 v13, v60, v13, -v50
	s_wait_dscnt 0x4
	v_mul_f16_e32 v103, v56, v53
	v_fmac_f16_e32 v98, v47, v82
	v_lshrrev_b32_e32 v47, 16, v84
	v_mul_f16_e32 v50, v57, v53
	v_fma_f16 v82, v99, v82, -v51
	v_fmac_f16_e32 v103, v57, v83
	v_lshrrev_b32_e32 v51, 16, v85
	v_mul_f16_e32 v99, v105, v47
	v_mul_f16_e32 v47, v48, v47
	v_fma_f16 v83, v56, v83, -v50
	s_wait_loadcnt 0x2
	v_lshrrev_b32_e32 v50, 16, v86
	s_wait_dscnt 0x3
	v_mul_f16_e32 v104, v54, v51
	v_fmac_f16_e32 v99, v48, v84
	v_fma_f16 v84, v105, v84, -v47
	v_mul_f16_e32 v47, v55, v51
	v_mul_f16_e32 v105, v106, v50
	;; [unrolled: 1-line block ×3, first 2 shown]
	v_lshrrev_b32_e32 v48, 16, v87
	ds_load_u16 v112, v1
	v_fmac_f16_e32 v104, v55, v85
	v_fmac_f16_e32 v105, v45, v86
	s_wait_loadcnt 0x1
	v_lshrrev_b32_e32 v45, 16, v88
	v_fma_f16 v86, v106, v86, -v50
	v_fma_f16 v85, v54, v85, -v47
	s_wait_dscnt 0x3
	v_mul_f16_e32 v110, v61, v48
	v_mul_f16_e32 v47, v52, v48
	;; [unrolled: 1-line block ×3, first 2 shown]
	v_lshrrev_b32_e32 v48, 16, v89
	v_mul_f16_e32 v45, v44, v45
	v_fmac_f16_e32 v110, v52, v87
	v_fma_f16 v87, v61, v87, -v47
	v_fmac_f16_e32 v106, v44, v88
	s_wait_loadcnt 0x0
	v_lshrrev_b32_e32 v44, 16, v90
	s_wait_dscnt 0x2
	v_mul_f16_e32 v111, v62, v48
	v_fma_f16 v88, v107, v88, -v45
	v_mul_f16_e32 v45, v49, v48
	v_lshrrev_b32_e32 v47, 16, v91
	v_mul_f16_e32 v107, v108, v44
	v_fmac_f16_e32 v111, v49, v89
	v_mul_f16_e32 v44, v43, v44
	v_fma_f16 v89, v62, v89, -v45
	s_wait_dscnt 0x1
	v_mul_f16_e32 v113, v101, v47
	v_mul_f16_e32 v45, v46, v47
	v_fmac_f16_e32 v107, v43, v90
	v_add_f16_e32 v43, v100, v109
	v_fma_f16 v90, v108, v90, -v44
	v_fmac_f16_e32 v113, v46, v91
	v_fma_f16 v91, v101, v91, -v45
	v_add_f16_e32 v44, v42, v100
	v_fmac_f16_e32 v42, -0.5, v43
	v_add_f16_e32 v43, v4, v5
	s_wait_dscnt 0x0
	v_add_f16_e32 v45, v112, v4
	v_sub_f16_e32 v4, v4, v5
	v_add_f16_e32 v48, v95, v96
	v_add_f16_e32 v51, v97, v102
	v_fmac_f16_e32 v112, -0.5, v43
	v_add_f16_e32 v43, v44, v109
	v_add_f16_e32 v44, v94, v92
	;; [unrolled: 1-line block ×4, first 2 shown]
	v_sub_f16_e32 v46, v100, v109
	v_fmamk_f16 v47, v4, 0xbaee, v42
	v_fmac_f16_e32 v42, 0x3aee, v4
	v_add_f16_e32 v4, v41, v94
	v_fmac_f16_e32 v41, -0.5, v44
	v_sub_f16_e32 v44, v6, v7
	v_add_f16_e32 v49, v33, v59
	v_fmac_f16_e32 v33, -0.5, v45
	v_sub_f16_e32 v45, v8, v9
	;; [unrolled: 3-line block ×3, first 2 shown]
	v_add_f16_e32 v52, v98, v103
	v_add_f16_e32 v53, v31, v97
	v_fmac_f16_e32 v31, -0.5, v51
	v_sub_f16_e32 v51, v12, v13
	v_fmamk_f16 v100, v46, 0x3aee, v112
	v_fmac_f16_e32 v112, 0xbaee, v46
	v_fmamk_f16 v46, v44, 0xbaee, v41
	v_fmac_f16_e32 v41, 0x3aee, v44
	v_fmamk_f16 v44, v45, 0xbaee, v33
	v_fmac_f16_e32 v33, 0x3aee, v45
	v_fmamk_f16 v45, v48, 0xbaee, v32
	v_add_f16_e32 v54, v30, v98
	v_fmac_f16_e32 v30, -0.5, v52
	v_sub_f16_e32 v52, v82, v83
	v_fmac_f16_e32 v32, 0x3aee, v48
	v_fmamk_f16 v48, v51, 0xbaee, v31
	v_fmac_f16_e32 v31, 0x3aee, v51
	v_add_f16_e32 v51, v99, v104
	v_add_f16_e32 v56, v105, v110
	;; [unrolled: 1-line block ×3, first 2 shown]
	v_fmamk_f16 v55, v52, 0xbaee, v30
	v_fmac_f16_e32 v30, 0x3aee, v52
	v_add_f16_e32 v52, v29, v99
	v_fmac_f16_e32 v29, -0.5, v51
	v_sub_f16_e32 v51, v84, v85
	v_add_f16_e32 v58, v23, v105
	v_fmac_f16_e32 v23, -0.5, v56
	v_sub_f16_e32 v56, v86, v87
	;; [unrolled: 3-line block ×3, first 2 shown]
	v_fmamk_f16 v61, v51, 0xbaee, v29
	v_fmac_f16_e32 v29, 0x3aee, v51
	v_fmamk_f16 v51, v56, 0xbaee, v23
	v_fmac_f16_e32 v23, 0x3aee, v56
	;; [unrolled: 2-line block ×3, first 2 shown]
	v_add_f16_e32 v57, v107, v113
	v_add_f16_e32 v62, v28, v107
	ds_load_u16 v101, v1 offset:162
	ds_load_u16 v108, v1 offset:324
	ds_load_u16 v114, v1 offset:486
	ds_load_u16 v115, v1 offset:648
	ds_load_u16 v116, v1 offset:810
	ds_load_u16 v117, v1 offset:972
	ds_load_u16 v118, v1 offset:1134
	v_add_f16_e32 v4, v4, v92
	v_fmac_f16_e32 v28, -0.5, v57
	v_sub_f16_e32 v57, v90, v91
	s_delay_alu instid0(VALU_DEP_1) | instskip(SKIP_3) | instid1(VALU_DEP_2)
	v_fmamk_f16 v109, v57, 0xbaee, v28
	v_fmac_f16_e32 v28, 0x3aee, v57
	v_lshlrev_b32_e32 v57, 1, v63
	v_lshlrev_b32_e32 v63, 1, v71
	v_add3_u32 v18, 0, v18, v57
	v_lshlrev_b32_e32 v57, 1, v66
	ds_load_u16 v66, v1 offset:1296
	global_wb scope:SCOPE_SE
	s_wait_dscnt 0x0
	s_barrier_signal -1
	s_barrier_wait -1
	v_add3_u32 v19, 0, v19, v57
	v_and_b32_e32 v57, 0xffff, v65
	global_inv scope:SCOPE_SE
	ds_store_b16 v18, v43
	ds_store_b16 v18, v47 offset:60
	ds_store_b16 v18, v42 offset:120
	v_lshlrev_b32_e32 v42, 1, v69
	v_mul_u32_u24_e32 v43, 0xb4, v64
	v_mul_u32_u24_e32 v57, 0xb4, v57
	ds_store_b16 v19, v4
	ds_store_b16 v19, v46 offset:60
	ds_store_b16 v19, v41 offset:120
	v_add_f16_e32 v4, v49, v93
	v_lshlrev_b32_e32 v41, 1, v72
	v_add3_u32 v64, 0, v43, v42
	v_add3_u32 v65, 0, v57, v63
	v_mul_u32_u24_e32 v42, 0xb4, v67
	v_add_f16_e32 v43, v50, v96
	ds_store_b16 v65, v4
	ds_store_b16 v65, v44 offset:60
	ds_store_b16 v65, v33 offset:120
	v_add3_u32 v4, 0, v42, v41
	v_lshlrev_b32_e32 v33, 1, v73
	v_mul_u32_u24_e32 v41, 0xb4, v68
	ds_store_b16 v64, v43
	ds_store_b16 v64, v45 offset:60
	ds_store_b16 v64, v32 offset:120
	v_add_f16_e32 v32, v53, v102
	v_add_f16_e32 v42, v54, v103
	ds_store_b16 v4, v32
	ds_store_b16 v4, v48 offset:60
	ds_store_b16 v4, v31 offset:120
	v_add3_u32 v67, 0, v41, v33
	v_lshlrev_b32_e32 v33, 1, v77
	v_mul_u32_u24_e32 v41, 0xb4, v70
	v_lshlrev_b32_e32 v31, 1, v76
	v_mul_u32_u24_e32 v32, 0xb4, v74
	ds_store_b16 v67, v42
	ds_store_b16 v67, v55 offset:60
	ds_store_b16 v67, v30 offset:120
	v_add_f16_e32 v30, v52, v104
	v_add3_u32 v68, 0, v41, v33
	v_lshlrev_b32_e32 v33, 1, v80
	v_add3_u32 v69, 0, v32, v31
	v_lshlrev_b32_e32 v31, 1, v79
	v_mul_u32_u24_e32 v32, 0xb4, v75
	v_mul_u32_u24_e32 v41, 0xb4, v78
	ds_store_b16 v68, v30
	ds_store_b16 v68, v61 offset:60
	ds_store_b16 v68, v29 offset:120
	v_add_f16_e32 v29, v58, v110
	v_add_f16_e32 v72, v6, v7
	;; [unrolled: 1-line block ×3, first 2 shown]
	v_add3_u32 v70, 0, v32, v31
	v_add_f16_e32 v30, v60, v111
	v_add_f16_e32 v31, v62, v113
	v_add3_u32 v71, 0, v41, v33
	ds_store_b16 v69, v29
	ds_store_b16 v69, v51 offset:60
	ds_store_b16 v69, v23 offset:120
	ds_store_b16 v70, v30
	ds_store_b16 v70, v56 offset:60
	ds_store_b16 v70, v27 offset:120
	;; [unrolled: 3-line block ×3, first 2 shown]
	global_wb scope:SCOPE_SE
	s_wait_dscnt 0x0
	s_barrier_signal -1
	s_barrier_wait -1
	global_inv scope:SCOPE_SE
	ds_load_u16 v54, v1 offset:3564
	ds_load_u16 v53, v1 offset:3726
	;; [unrolled: 1-line block ×6, first 2 shown]
	ds_load_u16 v42, v1
	ds_load_u16 v41, v1 offset:162
	ds_load_u16 v33, v1 offset:324
	;; [unrolled: 1-line block ×23, first 2 shown]
	global_wb scope:SCOPE_SE
	s_wait_dscnt 0x0
	s_barrier_signal -1
	s_barrier_wait -1
	global_inv scope:SCOPE_SE
	ds_store_b16 v18, v5
	ds_store_b16 v18, v100 offset:60
	ds_store_b16 v18, v112 offset:120
	v_add_f16_e32 v5, v6, v7
	v_add_f16_e32 v6, v8, v9
	;; [unrolled: 1-line block ×5, first 2 shown]
	v_fmac_f16_e32 v101, -0.5, v72
	v_fmac_f16_e32 v108, -0.5, v6
	v_sub_f16_e32 v6, v59, v93
	v_fmac_f16_e32 v114, -0.5, v18
	v_sub_f16_e32 v18, v95, v96
	v_add_f16_e32 v8, v8, v9
	v_sub_f16_e32 v72, v94, v92
	v_fmamk_f16 v9, v6, 0x3aee, v108
	v_fmac_f16_e32 v108, 0xbaee, v6
	v_add_f16_e32 v6, v10, v11
	v_add_f16_e32 v10, v12, v13
	v_fmamk_f16 v11, v18, 0x3aee, v114
	v_fmac_f16_e32 v114, 0xbaee, v18
	v_add_f16_e32 v18, v82, v83
	v_add_f16_e32 v12, v115, v12
	v_fmac_f16_e32 v115, -0.5, v10
	v_sub_f16_e32 v10, v97, v102
	v_add_f16_e32 v59, v116, v82
	v_fmac_f16_e32 v116, -0.5, v18
	v_sub_f16_e32 v18, v98, v103
	v_fmamk_f16 v7, v72, 0x3aee, v101
	v_fmac_f16_e32 v101, 0xbaee, v72
	v_add_f16_e32 v12, v12, v13
	v_fmamk_f16 v13, v10, 0x3aee, v115
	v_fmac_f16_e32 v115, 0xbaee, v10
	v_add_f16_e32 v10, v59, v83
	v_fmamk_f16 v72, v18, 0x3aee, v116
	v_fmac_f16_e32 v116, 0xbaee, v18
	ds_store_b16 v19, v5
	ds_store_b16 v19, v7 offset:60
	ds_store_b16 v19, v101 offset:120
	ds_store_b16 v65, v8
	ds_store_b16 v65, v9 offset:60
	ds_store_b16 v65, v108 offset:120
	ds_store_b16 v64, v6
	ds_store_b16 v64, v11 offset:60
	ds_store_b16 v64, v114 offset:120
	ds_store_b16 v4, v12
	ds_store_b16 v4, v13 offset:60
	ds_store_b16 v4, v115 offset:120
	ds_store_b16 v67, v10
	ds_store_b16 v67, v72 offset:60
	ds_store_b16 v67, v116 offset:120
	v_dual_mov_b32 v5, 0 :: v_dual_lshlrev_b32 v4, 1, v0
	v_add_f16_e32 v59, v84, v85
	v_add_f16_e32 v18, v86, v87
	v_add_f16_e32 v73, v117, v84
	v_add_nc_u32_e32 v8, -9, v0
	v_lshlrev_b64_e32 v[6:7], 2, v[4:5]
	v_fmac_f16_e32 v117, -0.5, v59
	v_sub_f16_e32 v59, v99, v104
	v_add_f16_e32 v74, v118, v86
	v_fmac_f16_e32 v118, -0.5, v18
	v_sub_f16_e32 v18, v105, v110
	v_add_co_u32 v6, s0, s4, v6
	s_wait_alu 0xf1ff
	v_add_co_ci_u32_e64 v7, s0, s5, v7, s0
	v_cmp_gt_u32_e64 s0, 9, v0
	v_add_f16_e32 v73, v73, v85
	v_mul_lo_u16 v9, 0xb7, v14
	v_fmamk_f16 v75, v59, 0x3aee, v117
	v_fmac_f16_e32 v117, 0xbaee, v59
	s_wait_alu 0xf1ff
	v_cndmask_b32_e64 v8, v8, v20, s0
	v_add_f16_e32 v59, v74, v87
	v_fmamk_f16 v76, v18, 0x3aee, v118
	v_fmac_f16_e32 v118, 0xbaee, v18
	ds_store_b16 v68, v73
	ds_store_b16 v68, v75 offset:60
	ds_store_b16 v68, v117 offset:120
	ds_store_b16 v69, v59
	ds_store_b16 v69, v76 offset:60
	ds_store_b16 v69, v118 offset:120
	v_lshrrev_b16 v59, 14, v9
	v_dual_mov_b32 v9, v5 :: v_dual_lshlrev_b32 v8, 1, v8
	v_add_f16_e32 v74, v88, v89
	v_add_f16_e32 v18, v90, v91
	;; [unrolled: 1-line block ×3, first 2 shown]
	v_mul_lo_u16 v14, 0x5a, v59
	v_lshlrev_b64_e32 v[12:13], 2, v[8:9]
	v_mul_u32_u24_e32 v9, 0x2d83, v15
	v_fmac_f16_e32 v66, -0.5, v74
	v_sub_f16_e32 v74, v106, v111
	v_add_f16_e32 v78, v81, v90
	v_fmac_f16_e32 v81, -0.5, v18
	v_sub_f16_e32 v18, v107, v113
	v_add_f16_e32 v77, v77, v89
	v_sub_nc_u16 v14, v21, v14
	v_lshrrev_b32_e32 v9, 20, v9
	v_fmamk_f16 v79, v74, 0x3aee, v66
	v_fmac_f16_e32 v66, 0xbaee, v74
	v_add_f16_e32 v74, v78, v91
	v_fmamk_f16 v78, v18, 0x3aee, v81
	v_fmac_f16_e32 v81, 0xbaee, v18
	ds_store_b16 v70, v77
	ds_store_b16 v70, v79 offset:60
	ds_store_b16 v70, v66 offset:120
	ds_store_b16 v71, v74
	ds_store_b16 v71, v78 offset:60
	ds_store_b16 v71, v81 offset:120
	v_and_b32_e32 v66, 0xff, v14
	v_mul_lo_u16 v14, 0x5a, v9
	v_mul_u32_u24_e32 v15, 0x2d83, v16
	v_add_co_u32 v12, s0, s4, v12
	s_delay_alu instid0(VALU_DEP_4) | instskip(NEXT) | instid1(VALU_DEP_4)
	v_lshlrev_b32_e32 v16, 3, v66
	v_sub_nc_u16 v18, v36, v14
	s_delay_alu instid0(VALU_DEP_4)
	v_lshrrev_b32_e32 v64, 20, v15
	global_wb scope:SCOPE_SE
	s_wait_dscnt 0x0
	s_barrier_signal -1
	s_barrier_wait -1
	v_and_b32_e32 v68, 0xffff, v18
	global_inv scope:SCOPE_SE
	s_clause 0x1
	global_load_b64 v[10:11], v[6:7], off offset:320
	global_load_b64 v[14:15], v16, s[4:5] offset:320
	s_wait_alu 0xf1ff
	v_add_co_ci_u32_e64 v13, s0, s5, v13, s0
	v_mul_lo_u16 v16, 0x5a, v64
	v_lshlrev_b32_e32 v18, 3, v68
	v_lshrrev_b32_e32 v65, 20, v17
	global_load_b64 v[12:13], v[12:13], off offset:320
	v_mul_u32_u24_e32 v74, 0x2d83, v25
	v_sub_nc_u16 v19, v37, v16
	global_load_b64 v[16:17], v18, s[4:5] offset:320
	v_mul_u32_u24_e32 v18, 0x2d83, v22
	v_mul_u32_u24_e32 v81, 0x2d83, v26
	v_cmp_lt_u32_e64 s0, 8, v0
	v_and_b32_e32 v67, 0xffff, v19
	v_mul_lo_u16 v19, 0x5a, v65
	v_lshrrev_b32_e32 v69, 20, v18
	v_mul_u32_u24_e32 v9, 0x21c, v9
	v_mul_u32_u24_e32 v26, 0x795d, v26
	v_lshlrev_b32_e32 v70, 3, v67
	v_sub_nc_u16 v71, v35, v19
	v_mul_lo_u16 v72, 0x5a, v69
	s_delay_alu instid0(VALU_DEP_4) | instskip(SKIP_3) | instid1(VALU_DEP_2)
	v_lshrrev_b32_e32 v26, 23, v26
	global_load_b64 v[18:19], v70, s[4:5] offset:320
	v_sub_nc_u16 v72, v34, v72
	v_mul_lo_u16 v26, 0x10e, v26
	v_and_b32_e32 v72, 0xffff, v72
	s_delay_alu instid0(VALU_DEP_2) | instskip(NEXT) | instid1(VALU_DEP_2)
	v_sub_nc_u16 v26, v40, v26
	v_lshlrev_b32_e32 v76, 3, v72
	global_load_b64 v[79:80], v76, s[4:5] offset:320
	v_and_b32_e32 v70, 0xffff, v71
	v_mul_u32_u24_e32 v71, 0x2d83, v24
	v_mul_u32_u24_e32 v24, 0x795d, v24
	s_delay_alu instid0(VALU_DEP_3) | instskip(NEXT) | instid1(VALU_DEP_3)
	v_lshlrev_b32_e32 v73, 3, v70
	v_lshrrev_b32_e32 v71, 20, v71
	s_delay_alu instid0(VALU_DEP_3) | instskip(SKIP_3) | instid1(VALU_DEP_2)
	v_lshrrev_b32_e32 v24, 23, v24
	global_load_b64 v[77:78], v73, s[4:5] offset:320
	v_mul_lo_u16 v75, 0x5a, v71
	v_lshrrev_b32_e32 v73, 20, v74
	v_sub_nc_u16 v74, v38, v75
	s_delay_alu instid0(VALU_DEP_2) | instskip(NEXT) | instid1(VALU_DEP_2)
	v_mul_lo_u16 v76, 0x5a, v73
	v_and_b32_e32 v75, 0xffff, v74
	v_lshrrev_b32_e32 v74, 20, v81
	s_delay_alu instid0(VALU_DEP_3) | instskip(NEXT) | instid1(VALU_DEP_3)
	v_sub_nc_u16 v76, v39, v76
	v_lshlrev_b32_e32 v81, 3, v75
	s_delay_alu instid0(VALU_DEP_3) | instskip(NEXT) | instid1(VALU_DEP_3)
	v_mul_lo_u16 v74, 0x5a, v74
	v_and_b32_e32 v76, 0xffff, v76
	global_load_b64 v[81:82], v81, s[4:5] offset:320
	v_sub_nc_u16 v74, v40, v74
	v_lshlrev_b32_e32 v83, 3, v76
	s_delay_alu instid0(VALU_DEP_2)
	v_and_b32_e32 v74, 0xffff, v74
	global_load_b64 v[83:84], v83, s[4:5] offset:320
	v_lshlrev_b32_e32 v85, 3, v74
	global_load_b64 v[85:86], v85, s[4:5] offset:320
	ds_load_u16 v87, v1 offset:1620
	ds_load_u16 v88, v1 offset:3240
	;; [unrolled: 1-line block ×16, first 2 shown]
	s_wait_loadcnt 0x9
	v_lshrrev_b32_e32 v89, 16, v10
	v_lshrrev_b32_e32 v98, 16, v11
	s_wait_dscnt 0xf
	s_delay_alu instid0(VALU_DEP_2)
	v_mul_f16_e32 v97, v87, v89
	v_mul_f16_e32 v89, v62, v89
	s_wait_dscnt 0xe
	v_mul_f16_e32 v106, v88, v98
	s_wait_loadcnt 0x7
	v_lshrrev_b32_e32 v107, 16, v12
	v_fmac_f16_e32 v97, v62, v10
	v_mul_f16_e32 v62, v63, v98
	v_fma_f16 v10, v87, v10, -v89
	v_fmac_f16_e32 v106, v63, v11
	s_wait_dscnt 0xd
	v_mul_f16_e32 v63, v90, v107
	v_mul_f16_e32 v87, v61, v107
	v_lshrrev_b32_e32 v89, 16, v13
	v_fma_f16 v11, v88, v11, -v62
	v_lshrrev_b32_e32 v62, 16, v14
	v_fmac_f16_e32 v63, v61, v12
	v_fma_f16 v12, v90, v12, -v87
	s_wait_dscnt 0x6
	v_mul_f16_e32 v61, v99, v89
	v_mul_f16_e32 v87, v60, v89
	;; [unrolled: 1-line block ×4, first 2 shown]
	v_lshrrev_b32_e32 v89, 16, v15
	v_fmac_f16_e32 v61, v60, v13
	v_fma_f16 v13, v99, v13, -v87
	v_fmac_f16_e32 v88, v57, v14
	v_fma_f16 v14, v91, v14, -v62
	s_wait_dscnt 0x5
	v_mul_f16_e32 v57, v100, v89
	v_mul_f16_e32 v62, v54, v89
	s_wait_loadcnt 0x6
	v_lshrrev_b32_e32 v87, 16, v17
	ds_load_u16 v89, v1 offset:3888
	v_lshrrev_b32_e32 v60, 16, v16
	v_fmac_f16_e32 v57, v54, v15
	v_fma_f16 v15, v100, v15, -v62
	s_wait_dscnt 0x5
	v_mul_f16_e32 v62, v101, v87
	v_mul_f16_e32 v87, v53, v87
	;; [unrolled: 1-line block ×4, first 2 shown]
	s_delay_alu instid0(VALU_DEP_4)
	v_fmac_f16_e32 v62, v53, v17
	ds_load_u16 v53, v1 offset:4050
	v_fmac_f16_e32 v54, v55, v16
	s_wait_loadcnt 0x5
	v_lshrrev_b32_e32 v55, 16, v18
	v_fma_f16 v17, v101, v17, -v87
	v_lshrrev_b32_e32 v87, 16, v19
	v_fma_f16 v16, v92, v16, -v60
	ds_load_u16 v90, v1 offset:4212
	ds_load_u16 v91, v1 offset:4374
	;; [unrolled: 1-line block ×4, first 2 shown]
	v_mul_f16_e32 v60, v93, v55
	v_mul_f16_e32 v55, v50, v55
	s_wait_loadcnt 0x3
	v_lshrrev_b32_e32 v100, 16, v77
	s_wait_dscnt 0x5
	v_mul_f16_e32 v99, v89, v87
	v_fmac_f16_e32 v60, v50, v18
	v_mul_f16_e32 v50, v58, v87
	v_fma_f16 v18, v93, v18, -v55
	s_delay_alu instid0(VALU_DEP_4)
	v_fmac_f16_e32 v99, v58, v19
	v_mul_f16_e32 v55, v94, v100
	v_lshrrev_b32_e32 v58, 16, v78
	v_fma_f16 v19, v89, v19, -v50
	v_mul_f16_e32 v50, v48, v100
	v_lshrrev_b32_e32 v87, 16, v79
	v_fmac_f16_e32 v55, v48, v77
	s_wait_dscnt 0x4
	v_mul_f16_e32 v48, v53, v58
	v_mul_f16_e32 v58, v56, v58
	v_fma_f16 v50, v94, v77, -v50
	v_mul_f16_e32 v77, v102, v87
	v_lshrrev_b32_e32 v89, 16, v80
	v_fmac_f16_e32 v48, v56, v78
	v_mul_f16_e32 v56, v51, v87
	v_fma_f16 v53, v53, v78, -v58
	v_fmac_f16_e32 v77, v51, v79
	s_wait_dscnt 0x3
	v_mul_f16_e32 v51, v90, v89
	s_wait_loadcnt 0x2
	v_lshrrev_b32_e32 v58, 16, v81
	v_mul_f16_e32 v78, v52, v89
	v_fma_f16 v56, v102, v79, -v56
	v_lshrrev_b32_e32 v79, 16, v82
	v_fmac_f16_e32 v51, v52, v80
	v_mul_f16_e32 v52, v103, v58
	v_fma_f16 v78, v90, v80, -v78
	s_wait_loadcnt 0x1
	v_lshrrev_b32_e32 v87, 16, v83
	s_wait_dscnt 0x2
	v_mul_f16_e32 v80, v91, v79
	v_mul_f16_e32 v58, v47, v58
	v_fmac_f16_e32 v52, v47, v81
	v_mul_f16_e32 v47, v49, v79
	v_lshrrev_b32_e32 v79, 16, v84
	v_fmac_f16_e32 v80, v49, v82
	v_mul_f16_e32 v49, v104, v87
	v_fma_f16 v58, v103, v81, -v58
	v_fma_f16 v47, v91, v82, -v47
	v_mul_f16_e32 v81, v45, v87
	s_wait_loadcnt 0x0
	v_lshrrev_b32_e32 v82, 16, v85
	v_fmac_f16_e32 v49, v45, v83
	s_wait_dscnt 0x1
	v_mul_f16_e32 v45, v92, v79
	v_mul_f16_e32 v79, v46, v79
	v_fma_f16 v81, v104, v83, -v81
	v_mul_f16_e32 v83, v105, v82
	v_lshrrev_b32_e32 v87, 16, v86
	v_fmac_f16_e32 v45, v46, v84
	v_fma_f16 v46, v92, v84, -v79
	v_mul_f16_e32 v79, v44, v82
	ds_load_u16 v82, v1
	v_fmac_f16_e32 v83, v44, v85
	s_wait_dscnt 0x1
	v_mul_f16_e32 v44, v98, v87
	v_mul_f16_e32 v84, v43, v87
	v_fma_f16 v79, v105, v85, -v79
	v_add_f16_e32 v85, v97, v106
	s_wait_alu 0xf1ff
	v_cndmask_b32_e64 v87, 0, 0x21c, s0
	v_fmac_f16_e32 v44, v43, v86
	v_fma_f16 v43, v98, v86, -v84
	v_add_f16_e32 v84, v42, v97
	v_fmac_f16_e32 v42, -0.5, v85
	v_add_f16_e32 v85, v10, v11
	v_add3_u32 v8, 0, v87, v8
	ds_load_u16 v87, v1 offset:162
	ds_load_u16 v89, v1 offset:324
	;; [unrolled: 1-line block ×7, first 2 shown]
	v_sub_f16_e32 v86, v10, v11
	v_add_f16_e32 v98, v41, v63
	v_add_f16_e32 v84, v84, v106
	global_wb scope:SCOPE_SE
	s_wait_dscnt 0x0
	s_barrier_signal -1
	s_barrier_wait -1
	v_add_f16_e32 v10, v82, v10
	v_fmac_f16_e32 v82, -0.5, v85
	v_sub_f16_e32 v85, v97, v106
	v_fmamk_f16 v97, v86, 0xbaee, v42
	v_fmac_f16_e32 v42, 0x3aee, v86
	v_add_f16_e32 v10, v10, v11
	v_add_f16_e32 v11, v63, v61
	v_fmamk_f16 v86, v85, 0x3aee, v82
	v_fmac_f16_e32 v82, 0xbaee, v85
	v_add_f16_e32 v85, v12, v13
	global_inv scope:SCOPE_SE
	v_fmac_f16_e32 v41, -0.5, v11
	v_sub_f16_e32 v11, v12, v13
	v_add_f16_e32 v12, v87, v12
	v_fmac_f16_e32 v87, -0.5, v85
	v_add_f16_e32 v85, v98, v61
	v_sub_f16_e32 v61, v63, v61
	v_fmamk_f16 v63, v11, 0xbaee, v41
	v_fmac_f16_e32 v41, 0x3aee, v11
	v_add_f16_e32 v11, v12, v13
	v_add_f16_e32 v12, v88, v57
	v_fmamk_f16 v13, v61, 0x3aee, v87
	v_fmac_f16_e32 v87, 0xbaee, v61
	v_add_f16_e32 v61, v14, v15
	v_add_f16_e32 v98, v33, v88
	v_fmac_f16_e32 v33, -0.5, v12
	v_sub_f16_e32 v12, v14, v15
	v_add_f16_e32 v14, v89, v14
	v_fmac_f16_e32 v89, -0.5, v61
	v_add_f16_e32 v61, v98, v57
	v_sub_f16_e32 v57, v88, v57
	v_fmamk_f16 v88, v12, 0xbaee, v33
	v_fmac_f16_e32 v33, 0x3aee, v12
	v_add_f16_e32 v12, v14, v15
	v_add_f16_e32 v14, v54, v62
	v_fmamk_f16 v15, v57, 0x3aee, v89
	v_fmac_f16_e32 v89, 0xbaee, v57
	v_add_f16_e32 v57, v16, v17
	v_add_f16_e32 v98, v32, v54
	v_fmac_f16_e32 v32, -0.5, v14
	v_sub_f16_e32 v14, v16, v17
	v_add_f16_e32 v16, v90, v16
	v_fmac_f16_e32 v90, -0.5, v57
	v_sub_f16_e32 v54, v54, v62
	v_add_f16_e32 v57, v98, v62
	v_fmamk_f16 v62, v14, 0xbaee, v32
	v_fmac_f16_e32 v32, 0x3aee, v14
	v_add_f16_e32 v14, v16, v17
	v_add_f16_e32 v16, v60, v99
	v_fmamk_f16 v17, v54, 0x3aee, v90
	v_fmac_f16_e32 v90, 0xbaee, v54
	v_add_f16_e32 v54, v18, v19
	v_add_f16_e32 v98, v31, v60
	v_fmac_f16_e32 v31, -0.5, v16
	v_sub_f16_e32 v16, v18, v19
	v_add_f16_e32 v18, v91, v18
	v_fmac_f16_e32 v91, -0.5, v54
	v_sub_f16_e32 v60, v60, v99
	v_add_f16_e32 v54, v98, v99
	v_fmamk_f16 v98, v16, 0xbaee, v31
	v_fmac_f16_e32 v31, 0x3aee, v16
	v_add_f16_e32 v16, v18, v19
	v_add_f16_e32 v18, v55, v48
	v_fmamk_f16 v19, v60, 0x3aee, v91
	v_fmac_f16_e32 v91, 0xbaee, v60
	v_add_f16_e32 v60, v50, v53
	v_add_f16_e32 v99, v30, v55
	v_fmac_f16_e32 v30, -0.5, v18
	v_sub_f16_e32 v18, v50, v53
	v_add_f16_e32 v50, v92, v50
	v_fmac_f16_e32 v92, -0.5, v60
	v_add_f16_e32 v60, v99, v48
	v_sub_f16_e32 v48, v55, v48
	v_fmamk_f16 v55, v18, 0xbaee, v30
	v_fmac_f16_e32 v30, 0x3aee, v18
	v_add_f16_e32 v18, v50, v53
	v_add_f16_e32 v50, v77, v51
	v_fmamk_f16 v99, v48, 0x3aee, v92
	v_fmac_f16_e32 v92, 0xbaee, v48
	v_add_f16_e32 v48, v56, v78
	v_add_f16_e32 v53, v29, v77
	v_fmac_f16_e32 v29, -0.5, v50
	v_sub_f16_e32 v50, v56, v78
	v_add_f16_e32 v56, v93, v56
	v_fmac_f16_e32 v93, -0.5, v48
	v_add_f16_e32 v48, v53, v51
	v_sub_f16_e32 v51, v77, v51
	v_fmamk_f16 v53, v50, 0xbaee, v29
	v_fmac_f16_e32 v29, 0x3aee, v50
	v_add_f16_e32 v77, v56, v78
	v_add_f16_e32 v50, v52, v80
	v_fmamk_f16 v78, v51, 0x3aee, v93
	v_fmac_f16_e32 v93, 0xbaee, v51
	v_add_f16_e32 v51, v58, v47
	v_add_f16_e32 v56, v23, v52
	v_fmac_f16_e32 v23, -0.5, v50
	v_sub_f16_e32 v50, v58, v47
	v_add_f16_e32 v58, v94, v58
	v_fmac_f16_e32 v94, -0.5, v51
	v_sub_f16_e32 v52, v52, v80
	v_add_f16_e32 v51, v56, v80
	v_fmamk_f16 v56, v50, 0xbaee, v23
	v_fmac_f16_e32 v23, 0x3aee, v50
	v_add_f16_e32 v50, v81, v46
	v_fmamk_f16 v100, v52, 0x3aee, v94
	v_fmac_f16_e32 v94, 0xbaee, v52
	v_add_f16_e32 v52, v27, v49
	v_add_f16_e32 v80, v58, v47
	;; [unrolled: 1-line block ×4, first 2 shown]
	v_fmac_f16_e32 v95, -0.5, v50
	v_add_f16_e32 v50, v52, v45
	v_sub_f16_e32 v45, v49, v45
	v_fmac_f16_e32 v27, -0.5, v47
	v_sub_f16_e32 v47, v81, v46
	v_add_f16_e32 v81, v58, v46
	v_add_f16_e32 v46, v83, v44
	v_fmamk_f16 v101, v45, 0x3aee, v95
	v_fmac_f16_e32 v95, 0xbaee, v45
	v_add_f16_e32 v45, v79, v43
	v_add_f16_e32 v52, v96, v79
	v_fmamk_f16 v49, v47, 0xbaee, v27
	v_fmac_f16_e32 v27, 0x3aee, v47
	v_add_f16_e32 v47, v28, v83
	v_fmac_f16_e32 v28, -0.5, v46
	v_sub_f16_e32 v46, v79, v43
	v_fmac_f16_e32 v96, -0.5, v45
	v_sub_f16_e32 v45, v83, v44
	v_add_f16_e32 v79, v52, v43
	v_and_b32_e32 v43, 0xffff, v59
	ds_store_b16 v1, v84
	ds_store_b16 v1, v97 offset:180
	ds_store_b16 v1, v42 offset:360
	v_lshlrev_b32_e32 v42, 1, v68
	v_fmamk_f16 v83, v45, 0x3aee, v96
	v_fmac_f16_e32 v96, 0xbaee, v45
	v_lshlrev_b32_e32 v45, 1, v66
	v_mul_u32_u24_e32 v43, 0x21c, v43
	ds_store_b16 v8, v85
	ds_store_b16 v8, v63 offset:180
	ds_store_b16 v8, v41 offset:360
	v_mul_u32_u24_e32 v41, 0x21c, v64
	v_add3_u32 v9, 0, v9, v42
	v_lshlrev_b32_e32 v42, 1, v70
	v_add3_u32 v84, 0, v43, v45
	ds_store_b16 v84, v61
	ds_store_b16 v84, v88 offset:180
	ds_store_b16 v84, v33 offset:360
	v_lshlrev_b32_e32 v33, 1, v67
	v_lshlrev_b32_e32 v43, 1, v72
	ds_store_b16 v9, v57
	ds_store_b16 v9, v62 offset:180
	ds_store_b16 v9, v32 offset:360
	v_mul_u32_u24_e32 v32, 0x21c, v69
	v_lshlrev_b32_e32 v45, 1, v75
	v_add3_u32 v33, 0, v41, v33
	v_mul_u32_u24_e32 v41, 0x21c, v65
	ds_store_b16 v33, v54
	ds_store_b16 v33, v98 offset:180
	ds_store_b16 v33, v31 offset:360
	v_add3_u32 v67, 0, v41, v42
	v_add3_u32 v31, 0, v32, v43
	v_mul_u32_u24_e32 v32, 0x21c, v71
	v_add_f16_e32 v44, v47, v44
	v_fmamk_f16 v47, v46, 0xbaee, v28
	v_fmac_f16_e32 v28, 0x3aee, v46
	v_lshlrev_b32_e32 v46, 1, v76
	ds_store_b16 v67, v60
	ds_store_b16 v67, v55 offset:180
	ds_store_b16 v67, v30 offset:360
	v_mul_u32_u24_e32 v30, 0x21c, v73
	v_add3_u32 v32, 0, v32, v45
	ds_store_b16 v31, v48
	ds_store_b16 v31, v53 offset:180
	ds_store_b16 v31, v29 offset:360
	v_and_b32_e32 v73, 0xffff, v26
	v_add3_u32 v29, 0, v30, v46
	v_lshl_add_u32 v30, v74, 1, 0
	ds_store_b16 v32, v51
	ds_store_b16 v32, v56 offset:180
	ds_store_b16 v32, v23 offset:360
	ds_store_b16 v29, v50
	ds_store_b16 v29, v49 offset:180
	ds_store_b16 v29, v27 offset:360
	;; [unrolled: 1-line block ×5, first 2 shown]
	global_wb scope:SCOPE_SE
	s_wait_dscnt 0x0
	s_barrier_signal -1
	s_barrier_wait -1
	global_inv scope:SCOPE_SE
	ds_load_u16 v62, v1 offset:3564
	ds_load_u16 v61, v1 offset:3726
	;; [unrolled: 1-line block ×6, first 2 shown]
	ds_load_u16 v48, v1
	ds_load_u16 v50, v1 offset:162
	ds_load_u16 v49, v1 offset:324
	;; [unrolled: 1-line block ×23, first 2 shown]
	global_wb scope:SCOPE_SE
	s_wait_dscnt 0x0
	s_barrier_signal -1
	s_barrier_wait -1
	global_inv scope:SCOPE_SE
	ds_store_b16 v1, v10
	ds_store_b16 v1, v86 offset:180
	ds_store_b16 v1, v82 offset:360
	ds_store_b16 v8, v11
	ds_store_b16 v8, v13 offset:180
	ds_store_b16 v8, v87 offset:360
	;; [unrolled: 3-line block ×9, first 2 shown]
	v_mov_b32_e32 v9, v5
	v_dual_mov_b32 v13, v5 :: v_dual_lshlrev_b32 v8, 1, v20
	v_dual_mov_b32 v11, v5 :: v_dual_lshlrev_b32 v10, 1, v21
	v_subrev_nc_u32_e32 v12, 27, v0
	ds_store_b16 v30, v79 offset:4320
	ds_store_b16 v30, v83 offset:4500
	;; [unrolled: 1-line block ×3, first 2 shown]
	v_lshlrev_b64_e32 v[8:9], 2, v[8:9]
	global_wb scope:SCOPE_SE
	s_wait_dscnt 0x0
	s_barrier_signal -1
	s_barrier_wait -1
	global_inv scope:SCOPE_SE
	global_load_b64 v[14:15], v[6:7], off offset:1040
	v_add_co_u32 v8, s0, s4, v8
	s_wait_alu 0xf1ff
	v_add_co_ci_u32_e64 v9, s0, s5, v9, s0
	v_cmp_gt_u32_e64 s0, 27, v0
	v_lshlrev_b64_e32 v[10:11], 2, v[10:11]
	v_add_nc_u32_e32 v27, 0x6c, v4
	global_load_b64 v[16:17], v[8:9], off offset:1040
	v_mov_b32_e32 v28, v5
	s_wait_alu 0xf1ff
	v_cndmask_b32_e64 v12, v12, v36, s0
	v_mul_lo_u16 v30, 0x10e, v24
	v_add_co_u32 v10, s0, s4, v10
	s_wait_alu 0xf1ff
	v_add_co_ci_u32_e64 v11, s0, s5, v11, s0
	v_lshlrev_b32_e32 v12, 1, v12
	v_lshlrev_b64_e32 v[27:28], 2, v[27:28]
	v_lshlrev_b32_e32 v26, 3, v73
	global_load_b64 v[18:19], v[10:11], off offset:1040
	v_lshlrev_b64_e32 v[20:21], 2, v[12:13]
	v_mul_u32_u24_e32 v13, 0x795d, v22
	s_delay_alu instid0(VALU_DEP_2) | instskip(SKIP_1) | instid1(VALU_DEP_3)
	v_add_co_u32 v20, s0, s4, v20
	s_wait_alu 0xf1ff
	v_add_co_ci_u32_e64 v21, s0, s5, v21, s0
	v_add_co_u32 v22, s0, s4, v27
	v_lshrrev_b32_e32 v13, 23, v13
	global_load_b64 v[20:21], v[20:21], off offset:1040
	s_wait_alu 0xf1ff
	v_add_co_ci_u32_e64 v23, s0, s5, v28, s0
	v_dual_mov_b32 v28, v5 :: v_dual_add_nc_u32 v27, 0x10e, v4
	v_mul_lo_u16 v29, 0x10e, v13
	global_load_b64 v[22:23], v[22:23], off offset:1040
	v_mul_u32_u24_e32 v13, 0x654, v13
	v_add_nc_u32_e32 v4, 0, v4
	v_lshlrev_b64_e32 v[27:28], 2, v[27:28]
	v_sub_nc_u16 v29, v34, v29
	s_delay_alu instid0(VALU_DEP_2) | instskip(SKIP_1) | instid1(VALU_DEP_3)
	v_add_co_u32 v27, s0, s4, v27
	s_wait_alu 0xf1ff
	v_add_co_ci_u32_e64 v28, s0, s5, v28, s0
	s_delay_alu instid0(VALU_DEP_3)
	v_and_b32_e32 v74, 0xffff, v29
	v_mul_u32_u24_e32 v29, 0x795d, v25
	v_cmp_lt_u32_e64 s0, 26, v0
	global_load_b64 v[24:25], v[27:28], off offset:1040
	v_sub_nc_u16 v27, v38, v30
	v_lshlrev_b32_e32 v28, 3, v74
	v_lshrrev_b32_e32 v29, 23, v29
	s_delay_alu instid0(VALU_DEP_3) | instskip(SKIP_3) | instid1(VALU_DEP_2)
	v_and_b32_e32 v67, 0xffff, v27
	global_load_b64 v[32:33], v28, s[4:5] offset:1040
	v_mul_lo_u16 v27, 0x10e, v29
	v_lshlrev_b32_e32 v28, 3, v67
	v_sub_nc_u16 v27, v39, v27
	global_load_b64 v[30:31], v28, s[4:5] offset:1040
	v_and_b32_e32 v72, 0xffff, v27
	s_delay_alu instid0(VALU_DEP_1)
	v_lshlrev_b32_e32 v27, 3, v72
	s_clause 0x1
	global_load_b64 v[28:29], v27, s[4:5] offset:1040
	global_load_b64 v[26:27], v26, s[4:5] offset:1040
	ds_load_u16 v75, v1 offset:1620
	ds_load_u16 v76, v1 offset:3240
	;; [unrolled: 1-line block ×16, first 2 shown]
	s_wait_loadcnt 0x9
	v_lshrrev_b32_e32 v77, 16, v14
	v_lshrrev_b32_e32 v86, 16, v15
	s_wait_dscnt 0xf
	s_delay_alu instid0(VALU_DEP_2)
	v_mul_f16_e32 v85, v75, v77
	v_mul_f16_e32 v77, v70, v77
	s_wait_dscnt 0xe
	v_mul_f16_e32 v94, v76, v86
	s_wait_loadcnt 0x8
	v_lshrrev_b32_e32 v95, 16, v16
	v_fmac_f16_e32 v85, v70, v14
	v_mul_f16_e32 v70, v71, v86
	v_fma_f16 v14, v75, v14, -v77
	v_fmac_f16_e32 v94, v71, v15
	s_wait_dscnt 0xd
	v_mul_f16_e32 v71, v78, v95
	v_lshrrev_b32_e32 v75, 16, v17
	v_mul_f16_e32 v77, v69, v95
	v_fma_f16 v15, v76, v15, -v70
	s_wait_loadcnt 0x7
	v_lshrrev_b32_e32 v70, 16, v18
	v_fmac_f16_e32 v71, v69, v16
	s_wait_dscnt 0x6
	v_mul_f16_e32 v69, v87, v75
	v_fma_f16 v16, v78, v16, -v77
	v_lshrrev_b32_e32 v77, 16, v19
	v_mul_f16_e32 v76, v79, v70
	v_mul_f16_e32 v70, v66, v70
	;; [unrolled: 1-line block ×3, first 2 shown]
	v_fmac_f16_e32 v69, v68, v17
	s_delay_alu instid0(VALU_DEP_4) | instskip(NEXT) | instid1(VALU_DEP_4)
	v_fmac_f16_e32 v76, v66, v18
	v_fma_f16 v18, v79, v18, -v70
	s_wait_dscnt 0x5
	v_mul_f16_e32 v66, v88, v77
	v_mul_f16_e32 v70, v62, v77
	ds_load_u16 v77, v1 offset:3888
	s_wait_loadcnt 0x6
	v_lshrrev_b32_e32 v68, 16, v20
	v_fma_f16 v17, v87, v17, -v75
	v_lshrrev_b32_e32 v75, 16, v21
	v_fmac_f16_e32 v66, v62, v19
	v_fma_f16 v19, v88, v19, -v70
	v_mul_f16_e32 v62, v80, v68
	v_mul_f16_e32 v68, v63, v68
	s_wait_dscnt 0x5
	v_mul_f16_e32 v70, v89, v75
	v_mul_f16_e32 v75, v61, v75
	v_fmac_f16_e32 v62, v63, v20
	s_wait_loadcnt 0x5
	v_lshrrev_b32_e32 v63, 16, v22
	v_fma_f16 v20, v80, v20, -v68
	ds_load_u16 v68, v1 offset:4050
	v_fmac_f16_e32 v70, v61, v21
	v_fma_f16 v21, v89, v21, -v75
	v_lshrrev_b32_e32 v61, 16, v23
	v_mul_f16_e32 v75, v81, v63
	v_mul_f16_e32 v63, v59, v63
	ds_load_u16 v78, v1 offset:4212
	ds_load_u16 v79, v1 offset:4374
	;; [unrolled: 1-line block ×4, first 2 shown]
	s_wait_dscnt 0x5
	v_mul_f16_e32 v87, v77, v61
	v_fmac_f16_e32 v75, v59, v22
	s_wait_loadcnt 0x4
	v_lshrrev_b32_e32 v59, 16, v24
	v_mul_f16_e32 v61, v65, v61
	v_fma_f16 v22, v81, v22, -v63
	v_lshrrev_b32_e32 v63, 16, v25
	v_fmac_f16_e32 v87, v65, v23
	v_mul_f16_e32 v65, v82, v59
	v_fma_f16 v23, v77, v23, -v61
	v_mul_f16_e32 v59, v56, v59
	s_wait_loadcnt 0x3
	v_lshrrev_b32_e32 v77, 16, v32
	s_wait_dscnt 0x4
	v_mul_f16_e32 v61, v68, v63
	v_fmac_f16_e32 v65, v56, v24
	v_mul_f16_e32 v56, v64, v63
	v_fma_f16 v24, v82, v24, -v59
	v_mul_f16_e32 v59, v90, v77
	v_fmac_f16_e32 v61, v64, v25
	v_lshrrev_b32_e32 v63, 16, v33
	v_fma_f16 v25, v68, v25, -v56
	v_mul_f16_e32 v56, v58, v77
	s_wait_loadcnt 0x2
	v_lshrrev_b32_e32 v64, 16, v30
	v_fmac_f16_e32 v59, v58, v32
	s_wait_dscnt 0x3
	v_mul_f16_e32 v58, v78, v63
	v_mul_f16_e32 v63, v60, v63
	v_fma_f16 v32, v90, v32, -v56
	v_mul_f16_e32 v56, v91, v64
	v_lshrrev_b32_e32 v68, 16, v31
	v_fmac_f16_e32 v58, v60, v33
	v_fma_f16 v33, v78, v33, -v63
	v_mul_f16_e32 v60, v55, v64
	v_fmac_f16_e32 v56, v55, v30
	s_wait_dscnt 0x2
	v_mul_f16_e32 v55, v79, v68
	s_wait_loadcnt 0x1
	v_lshrrev_b32_e32 v63, 16, v28
	v_mul_f16_e32 v64, v57, v68
	v_fma_f16 v30, v91, v30, -v60
	v_lshrrev_b32_e32 v60, 16, v29
	v_fmac_f16_e32 v55, v57, v31
	v_mul_f16_e32 v57, v92, v63
	v_mul_f16_e32 v63, v52, v63
	v_fma_f16 v31, v79, v31, -v64
	s_wait_dscnt 0x1
	v_mul_f16_e32 v64, v80, v60
	s_wait_loadcnt 0x0
	v_lshrrev_b32_e32 v68, 16, v26
	v_fmac_f16_e32 v57, v52, v28
	v_fma_f16 v28, v92, v28, -v63
	ds_load_u16 v63, v1
	v_mul_f16_e32 v60, v54, v60
	v_fmac_f16_e32 v64, v54, v29
	v_lshrrev_b32_e32 v52, 16, v27
	v_mul_f16_e32 v54, v93, v68
	s_delay_alu instid0(VALU_DEP_4)
	v_fma_f16 v29, v80, v29, -v60
	v_mul_f16_e32 v60, v51, v68
	s_wait_dscnt 0x1
	v_mul_f16_e32 v68, v86, v52
	v_fmac_f16_e32 v54, v51, v26
	v_mul_f16_e32 v51, v53, v52
	v_add_f16_e32 v52, v85, v94
	v_fma_f16 v26, v93, v26, -v60
	v_fmac_f16_e32 v68, v53, v27
	v_add_f16_e32 v53, v48, v85
	v_fma_f16 v27, v86, v27, -v51
	v_add_f16_e32 v51, v14, v15
	v_fmac_f16_e32 v48, -0.5, v52
	v_sub_f16_e32 v52, v14, v15
	ds_load_u16 v60, v1 offset:162
	ds_load_u16 v77, v1 offset:324
	;; [unrolled: 1-line block ×7, first 2 shown]
	s_wait_dscnt 0x7
	v_add_f16_e32 v14, v63, v14
	v_fmac_f16_e32 v63, -0.5, v51
	v_sub_f16_e32 v51, v85, v94
	v_fmamk_f16 v85, v52, 0xbaee, v48
	v_fmac_f16_e32 v48, 0x3aee, v52
	v_add_f16_e32 v52, v14, v15
	v_add_f16_e32 v14, v71, v69
	v_fmamk_f16 v86, v51, 0x3aee, v63
	v_add_f16_e32 v15, v50, v71
	v_fmac_f16_e32 v63, 0xbaee, v51
	v_add_f16_e32 v51, v16, v17
	v_fmac_f16_e32 v50, -0.5, v14
	v_sub_f16_e32 v14, v16, v17
	v_add_f16_e32 v15, v15, v69
	s_wait_dscnt 0x6
	v_add_f16_e32 v16, v60, v16
	v_fmac_f16_e32 v60, -0.5, v51
	v_sub_f16_e32 v51, v71, v69
	v_fmamk_f16 v69, v14, 0xbaee, v50
	v_fmac_f16_e32 v50, 0x3aee, v14
	v_add_f16_e32 v14, v76, v66
	v_add_f16_e32 v71, v16, v17
	;; [unrolled: 1-line block ×4, first 2 shown]
	v_fmamk_f16 v88, v51, 0x3aee, v60
	v_fmac_f16_e32 v49, -0.5, v14
	v_sub_f16_e32 v14, v18, v19
	v_fmac_f16_e32 v60, 0xbaee, v51
	s_wait_dscnt 0x5
	v_add_f16_e32 v18, v77, v18
	v_fmac_f16_e32 v77, -0.5, v17
	v_sub_f16_e32 v17, v76, v66
	v_fmamk_f16 v51, v14, 0xbaee, v49
	v_fmac_f16_e32 v49, 0x3aee, v14
	v_add_f16_e32 v14, v62, v70
	v_add_f16_e32 v16, v16, v66
	;; [unrolled: 1-line block ×3, first 2 shown]
	v_fmamk_f16 v76, v17, 0x3aee, v77
	v_add_f16_e32 v18, v47, v62
	v_fmac_f16_e32 v77, 0xbaee, v17
	v_add_f16_e32 v17, v20, v21
	v_fmac_f16_e32 v47, -0.5, v14
	v_sub_f16_e32 v14, v20, v21
	s_wait_dscnt 0x4
	v_add_f16_e32 v19, v78, v20
	v_add_f16_e32 v18, v18, v70
	v_fmac_f16_e32 v78, -0.5, v17
	v_sub_f16_e32 v17, v62, v70
	v_fmamk_f16 v20, v14, 0xbaee, v47
	v_fmac_f16_e32 v47, 0x3aee, v14
	v_add_f16_e32 v14, v75, v87
	v_add_f16_e32 v62, v19, v21
	v_fmamk_f16 v70, v17, 0x3aee, v78
	v_add_f16_e32 v19, v45, v75
	v_fmac_f16_e32 v78, 0xbaee, v17
	v_add_f16_e32 v17, v22, v23
	v_fmac_f16_e32 v45, -0.5, v14
	v_sub_f16_e32 v14, v22, v23
	s_wait_dscnt 0x3
	v_add_f16_e32 v21, v79, v22
	v_add_f16_e32 v19, v19, v87
	v_fmac_f16_e32 v79, -0.5, v17
	v_sub_f16_e32 v17, v75, v87
	v_fmamk_f16 v22, v14, 0xbaee, v45
	v_fmac_f16_e32 v45, 0x3aee, v14
	v_add_f16_e32 v14, v65, v61
	v_add_f16_e32 v75, v21, v23
	;; [unrolled: 15-line block ×3, first 2 shown]
	v_fmamk_f16 v65, v17, 0x3aee, v80
	v_fmac_f16_e32 v80, 0xbaee, v17
	v_add_f16_e32 v17, v44, v59
	v_fmac_f16_e32 v44, -0.5, v14
	v_sub_f16_e32 v14, v32, v33
	v_add_f16_e32 v23, v32, v33
	s_wait_dscnt 0x1
	v_add_f16_e32 v25, v81, v32
	v_add_f16_e32 v17, v17, v58
	;; [unrolled: 1-line block ×3, first 2 shown]
	v_fmamk_f16 v32, v14, 0xbaee, v44
	v_fmac_f16_e32 v44, 0x3aee, v14
	v_add_f16_e32 v14, v56, v55
	v_fmac_f16_e32 v81, -0.5, v23
	v_sub_f16_e32 v23, v59, v58
	v_add_f16_e32 v58, v25, v33
	v_add_f16_e32 v25, v41, v56
	v_fmac_f16_e32 v41, -0.5, v14
	v_sub_f16_e32 v14, v30, v31
	v_fmamk_f16 v59, v23, 0x3aee, v81
	v_fmac_f16_e32 v81, 0xbaee, v23
	v_add_f16_e32 v23, v30, v31
	s_wait_dscnt 0x0
	v_add_f16_e32 v30, v82, v30
	v_fmamk_f16 v33, v14, 0xbaee, v41
	v_fmac_f16_e32 v41, 0x3aee, v14
	v_add_f16_e32 v14, v57, v64
	v_fmac_f16_e32 v82, -0.5, v23
	v_add_f16_e32 v23, v25, v55
	v_sub_f16_e32 v25, v56, v55
	v_add_f16_e32 v55, v30, v31
	v_add_f16_e32 v30, v42, v57
	v_fmac_f16_e32 v42, -0.5, v14
	v_sub_f16_e32 v14, v28, v29
	v_fmamk_f16 v56, v25, 0x3aee, v82
	v_fmac_f16_e32 v82, 0xbaee, v25
	v_add_f16_e32 v25, v28, v29
	v_add_f16_e32 v28, v83, v28
	v_fmamk_f16 v31, v14, 0xbaee, v42
	v_fmac_f16_e32 v42, 0x3aee, v14
	v_add_f16_e32 v14, v54, v68
	v_fmac_f16_e32 v83, -0.5, v25
	v_add_f16_e32 v25, v30, v64
	v_sub_f16_e32 v30, v57, v64
	v_add_f16_e32 v57, v28, v29
	v_add_f16_e32 v28, v26, v27
	;; [unrolled: 1-line block ×3, first 2 shown]
	v_fmac_f16_e32 v43, -0.5, v14
	v_sub_f16_e32 v14, v26, v27
	v_add_f16_e32 v26, v84, v26
	v_fmamk_f16 v64, v30, 0x3aee, v83
	v_fmac_f16_e32 v83, 0xbaee, v30
	v_fmac_f16_e32 v84, -0.5, v28
	v_sub_f16_e32 v28, v54, v68
	v_fmamk_f16 v30, v14, 0xbaee, v43
	v_fmac_f16_e32 v43, 0x3aee, v14
	v_add_f16_e32 v54, v26, v27
	v_lshlrev_b32_e32 v14, 1, v74
	s_wait_alu 0xf1ff
	v_cndmask_b32_e64 v26, 0, 0x654, s0
	global_wb scope:SCOPE_SE
	s_barrier_signal -1
	s_barrier_wait -1
	global_inv scope:SCOPE_SE
	ds_store_b16 v1, v53
	ds_store_b16 v1, v15 offset:162
	ds_store_b16 v1, v69 offset:702
	;; [unrolled: 1-line block ×4, first 2 shown]
	v_add3_u32 v12, 0, v26, v12
	ds_store_b16 v1, v50 offset:1242
	ds_store_b16 v1, v48 offset:1080
	;; [unrolled: 1-line block ×4, first 2 shown]
	v_add3_u32 v13, 0, v13, v14
	v_lshl_add_u32 v51, v67, 1, 0
	v_lshl_add_u32 v53, v72, 1, 0
	v_add_f16_e32 v29, v29, v68
	v_fmamk_f16 v68, v28, 0x3aee, v84
	v_fmac_f16_e32 v84, 0xbaee, v28
	ds_store_b16 v12, v18
	ds_store_b16 v12, v20 offset:540
	ds_store_b16 v12, v47 offset:1080
	;; [unrolled: 1-line block ×8, first 2 shown]
	ds_store_b16 v13, v17
	ds_store_b16 v13, v32 offset:540
	ds_store_b16 v13, v44 offset:1080
	v_lshl_add_u32 v67, v73, 1, 0
	ds_store_b16 v51, v23 offset:3240
	ds_store_b16 v51, v33 offset:3780
	;; [unrolled: 1-line block ×9, first 2 shown]
	global_wb scope:SCOPE_SE
	s_wait_dscnt 0x0
	s_barrier_signal -1
	s_barrier_wait -1
	global_inv scope:SCOPE_SE
	ds_load_u16 v41, v1 offset:3564
	ds_load_u16 v15, v1 offset:3726
	;; [unrolled: 1-line block ×6, first 2 shown]
	ds_load_u16 v26, v1
	ds_load_u16 v27, v1 offset:162
	ds_load_u16 v30, v1 offset:324
	;; [unrolled: 1-line block ×23, first 2 shown]
	global_wb scope:SCOPE_SE
	s_wait_dscnt 0x0
	s_barrier_signal -1
	s_barrier_wait -1
	global_inv scope:SCOPE_SE
	ds_store_b16 v1, v52
	ds_store_b16 v1, v71 offset:162
	ds_store_b16 v1, v88 offset:702
	ds_store_b16 v1, v86 offset:540
	ds_store_b16 v1, v66 offset:324
	ds_store_b16 v1, v60 offset:1242
	ds_store_b16 v1, v63 offset:1080
	ds_store_b16 v1, v76 offset:864
	ds_store_b16 v1, v77 offset:1404
	ds_store_b16 v12, v62
	ds_store_b16 v12, v70 offset:540
	ds_store_b16 v12, v78 offset:1080
	ds_store_b16 v4, v75 offset:1728
	ds_store_b16 v4, v61 offset:1890
	ds_store_b16 v4, v87 offset:2268
	ds_store_b16 v4, v65 offset:2430
	ds_store_b16 v4, v79 offset:2808
	ds_store_b16 v4, v80 offset:2970
	;; [unrolled: 9-line block ×3, first 2 shown]
	ds_store_b16 v67, v54 offset:3240
	ds_store_b16 v67, v68 offset:3780
	;; [unrolled: 1-line block ×3, first 2 shown]
	global_wb scope:SCOPE_SE
	s_wait_dscnt 0x0
	s_barrier_signal -1
	s_barrier_wait -1
	global_inv scope:SCOPE_SE
	s_and_saveexec_b32 s0, vcc_lo
	s_cbranch_execz .LBB0_13
; %bb.12:
	v_lshlrev_b32_e32 v4, 1, v40
	s_delay_alu instid0(VALU_DEP_1) | instskip(SKIP_1) | instid1(VALU_DEP_1)
	v_lshlrev_b64_e32 v[12:13], 2, v[4:5]
	v_lshlrev_b32_e32 v4, 1, v39
	v_lshlrev_b64_e32 v[51:52], 2, v[4:5]
	v_lshlrev_b32_e32 v4, 1, v38
	s_delay_alu instid0(VALU_DEP_4) | instskip(SKIP_2) | instid1(VALU_DEP_3)
	v_add_co_u32 v12, vcc_lo, s4, v12
	s_wait_alu 0xfffd
	v_add_co_ci_u32_e32 v13, vcc_lo, s5, v13, vcc_lo
	v_lshlrev_b64_e32 v[53:54], 2, v[4:5]
	v_lshlrev_b32_e32 v4, 1, v34
	v_add_co_u32 v51, vcc_lo, s4, v51
	s_wait_alu 0xfffd
	v_add_co_ci_u32_e32 v52, vcc_lo, s5, v52, vcc_lo
	s_delay_alu instid0(VALU_DEP_3)
	v_lshlrev_b64_e32 v[55:56], 2, v[4:5]
	v_lshlrev_b32_e32 v4, 1, v35
	s_clause 0x3
	global_load_b64 v[12:13], v[12:13], off offset:3200
	global_load_b64 v[10:11], v[10:11], off offset:3200
	global_load_b64 v[8:9], v[8:9], off offset:3200
	global_load_b64 v[6:7], v[6:7], off offset:3200
	v_add_co_u32 v53, vcc_lo, s4, v53
	global_load_b64 v[51:52], v[51:52], off offset:3200
	s_wait_alu 0xfffd
	v_add_co_ci_u32_e32 v54, vcc_lo, s5, v54, vcc_lo
	v_lshlrev_b64_e32 v[57:58], 2, v[4:5]
	v_lshlrev_b32_e32 v4, 1, v37
	v_add_co_u32 v55, vcc_lo, s4, v55
	global_load_b64 v[53:54], v[53:54], off offset:3200
	s_wait_alu 0xfffd
	v_add_co_ci_u32_e32 v56, vcc_lo, s5, v56, vcc_lo
	v_lshlrev_b64_e32 v[37:38], 2, v[4:5]
	v_lshlrev_b32_e32 v4, 1, v36
	v_add_co_u32 v57, vcc_lo, s4, v57
	global_load_b64 v[55:56], v[55:56], off offset:3200
	s_wait_alu 0xfffd
	v_add_co_ci_u32_e32 v58, vcc_lo, s5, v58, vcc_lo
	v_lshlrev_b64_e32 v[59:60], 2, v[4:5]
	v_add_co_u32 v37, vcc_lo, s4, v37
	global_load_b64 v[57:58], v[57:58], off offset:3200
	s_wait_alu 0xfffd
	v_add_co_ci_u32_e32 v38, vcc_lo, s5, v38, vcc_lo
	v_add_co_u32 v59, vcc_lo, s4, v59
	s_wait_alu 0xfffd
	v_add_co_ci_u32_e32 v60, vcc_lo, s5, v60, vcc_lo
	global_load_b64 v[37:38], v[37:38], off offset:3200
	v_mul_hi_u32 v4, 0x50e89cc3, v35
	v_mul_hi_u32 v34, 0x50e89cc3, v34
	global_load_b64 v[59:60], v[59:60], off offset:3200
	ds_load_u16 v36, v1 offset:2430
	ds_load_u16 v61, v1 offset:2268
	;; [unrolled: 1-line block ×29, first 2 shown]
	ds_load_u16 v89, v1
	v_mov_b32_e32 v1, v5
	v_mul_hi_u32 v35, 0x50e89cc3, v39
	v_mul_hi_u32 v39, 0x50e89cc3, v40
	v_lshrrev_b32_e32 v4, 8, v4
	v_lshrrev_b32_e32 v34, 8, v34
	v_lshlrev_b64_e32 v[0:1], 2, v[0:1]
	v_add_co_u32 v40, vcc_lo, s8, v2
	s_delay_alu instid0(VALU_DEP_4)
	v_mul_u32_u24_e32 v4, 0x654, v4
	s_wait_alu 0xfffd
	v_add_co_ci_u32_e32 v90, vcc_lo, s9, v3, vcc_lo
	v_lshrrev_b32_e32 v91, 8, v35
	v_add_co_u32 v0, vcc_lo, v40, v0
	v_lshlrev_b64_e32 v[2:3], 2, v[4:5]
	v_mul_u32_u24_e32 v4, 0x654, v34
	v_lshrrev_b32_e32 v92, 8, v39
	s_wait_alu 0xfffd
	v_add_co_ci_u32_e32 v1, vcc_lo, v90, v1, vcc_lo
	s_delay_alu instid0(VALU_DEP_3) | instskip(SKIP_4) | instid1(VALU_DEP_3)
	v_lshlrev_b64_e32 v[34:35], 2, v[4:5]
	v_mul_u32_u24_e32 v4, 0x654, v91
	v_add_co_u32 v2, vcc_lo, v0, v2
	s_wait_alu 0xfffd
	v_add_co_ci_u32_e32 v3, vcc_lo, v1, v3, vcc_lo
	v_lshlrev_b64_e32 v[39:40], 2, v[4:5]
	v_mul_u32_u24_e32 v4, 0x654, v92
	v_add_co_u32 v34, vcc_lo, v0, v34
	s_wait_alu 0xfffd
	v_add_co_ci_u32_e32 v35, vcc_lo, v1, v35, vcc_lo
	s_wait_loadcnt 0x9
	v_lshrrev_b32_e32 v90, 16, v12
	v_lshrrev_b32_e32 v91, 16, v13
	s_wait_loadcnt 0x8
	v_lshrrev_b32_e32 v92, 16, v10
	v_lshrrev_b32_e32 v93, 16, v11
	;; [unrolled: 3-line block ×4, first 2 shown]
	v_mul_f16_e32 v98, v49, v90
	v_mul_f16_e32 v99, v50, v91
	s_wait_dscnt 0x11
	v_mul_f16_e32 v90, v72, v90
	s_wait_dscnt 0xd
	v_mul_f16_e32 v91, v76, v91
	s_wait_loadcnt 0x5
	v_lshrrev_b32_e32 v100, 16, v51
	v_lshrrev_b32_e32 v101, 16, v52
	v_mul_f16_e32 v102, v42, v92
	v_mul_f16_e32 v103, v41, v93
	;; [unrolled: 1-line block ×12, first 2 shown]
	v_fma_f16 v72, v12, v72, -v98
	v_fma_f16 v76, v13, v76, -v99
	v_fmac_f16_e32 v90, v49, v12
	v_fmac_f16_e32 v91, v50, v13
	v_mul_f16_e32 v12, v43, v100
	v_mul_f16_e32 v13, v44, v101
	;; [unrolled: 1-line block ×3, first 2 shown]
	s_wait_dscnt 0xc
	v_mul_f16_e32 v50, v77, v101
	s_wait_loadcnt 0x4
	v_lshrrev_b32_e32 v98, 16, v53
	v_lshrrev_b32_e32 v99, 16, v54
	v_fma_f16 v63, v10, v63, -v102
	v_fma_f16 v69, v11, v69, -v103
	v_fmac_f16_e32 v92, v42, v10
	v_fmac_f16_e32 v93, v41, v11
	v_fma_f16 v10, v8, v64, -v104
	v_fmac_f16_e32 v94, v47, v8
	v_fmac_f16_e32 v95, v48, v9
	;; [unrolled: 3-line block ×3, first 2 shown]
	v_add_f16_e32 v6, v72, v76
	v_add_f16_e32 v41, v66, v72
	;; [unrolled: 1-line block ×4, first 2 shown]
	v_fma_f16 v12, v51, v73, -v12
	v_fma_f16 v13, v52, v77, -v13
	v_fmac_f16_e32 v49, v43, v51
	v_fmac_f16_e32 v50, v44, v52
	v_mul_f16_e32 v43, v31, v98
	v_mul_f16_e32 v44, v32, v99
	;; [unrolled: 1-line block ×3, first 2 shown]
	s_wait_dscnt 0xb
	v_mul_f16_e32 v48, v78, v99
	s_wait_loadcnt 0x3
	v_lshrrev_b32_e32 v51, 16, v55
	v_lshrrev_b32_e32 v52, 16, v56
	v_fma_f16 v11, v9, v70, -v105
	v_fma_f16 v9, v7, v71, -v107
	v_sub_f16_e32 v7, v90, v91
	v_sub_f16_e32 v45, v72, v76
	v_add_f16_e32 v64, v63, v69
	v_sub_f16_e32 v65, v92, v93
	s_wait_dscnt 0x2
	v_add_f16_e32 v70, v87, v63
	v_add_f16_e32 v71, v92, v93
	v_add_f16_e32 v72, v30, v92
	v_sub_f16_e32 v77, v94, v95
	s_wait_dscnt 0x1
	v_add_f16_e32 v90, v88, v10
	v_add_f16_e32 v92, v94, v95
	;; [unrolled: 5-line block ×3, first 2 shown]
	v_add_f16_e32 v96, v26, v96
	v_fma_f16 v6, -0.5, v6, v66
	v_add_f16_e32 v41, v41, v76
	v_fma_f16 v33, -0.5, v42, v33
	v_add_f16_e32 v42, v46, v91
	v_add_f16_e32 v46, v12, v13
	v_sub_f16_e32 v66, v49, v50
	v_add_f16_e32 v76, v67, v12
	v_add_f16_e32 v91, v49, v50
	;; [unrolled: 1-line block ×3, first 2 shown]
	v_fma_f16 v43, v53, v74, -v43
	v_fma_f16 v44, v54, v78, -v44
	v_fmac_f16_e32 v47, v31, v53
	v_fmac_f16_e32 v48, v32, v54
	v_mul_f16_e32 v31, v25, v51
	v_mul_f16_e32 v32, v29, v52
	;; [unrolled: 1-line block ×4, first 2 shown]
	s_wait_loadcnt 0x2
	v_lshrrev_b32_e32 v53, 16, v57
	v_lshrrev_b32_e32 v54, 16, v58
	v_sub_f16_e32 v63, v63, v69
	v_add_f16_e32 v73, v10, v11
	v_sub_f16_e32 v10, v10, v11
	v_add_f16_e32 v98, v8, v9
	v_sub_f16_e32 v8, v8, v9
	v_sub_f16_e32 v12, v12, v13
	v_fma_f16 v64, -0.5, v64, v87
	v_add_f16_e32 v69, v70, v69
	v_fma_f16 v30, -0.5, v71, v30
	v_add_f16_e32 v70, v72, v93
	v_add_f16_e32 v11, v90, v11
	;; [unrolled: 1-line block ×4, first 2 shown]
	v_fma_f16 v26, -0.5, v101, v26
	v_add_f16_e32 v74, v96, v97
	v_fmamk_f16 v78, v7, 0xbaee, v6
	v_fmac_f16_e32 v6, 0x3aee, v7
	v_fmamk_f16 v7, v45, 0x3aee, v33
	v_fmac_f16_e32 v33, 0xbaee, v45
	v_fma_f16 v45, -0.5, v46, v67
	v_add_f16_e32 v13, v76, v13
	v_fma_f16 v28, -0.5, v91, v28
	v_add_f16_e32 v46, v49, v50
	v_add_f16_e32 v49, v43, v44
	v_sub_f16_e32 v50, v47, v48
	v_add_f16_e32 v67, v82, v43
	v_add_f16_e32 v76, v47, v48
	;; [unrolled: 1-line block ×3, first 2 shown]
	v_fma_f16 v31, v55, v75, -v31
	v_fma_f16 v32, v56, v79, -v32
	v_fmac_f16_e32 v51, v25, v55
	v_fmac_f16_e32 v52, v29, v56
	v_mul_f16_e32 v25, v22, v53
	v_mul_f16_e32 v29, v24, v54
	;; [unrolled: 1-line block ×4, first 2 shown]
	s_wait_loadcnt 0x1
	v_lshrrev_b32_e32 v55, 16, v37
	v_lshrrev_b32_e32 v56, 16, v38
	v_fma_f16 v71, -0.5, v73, v88
	v_fma_f16 v27, -0.5, v92, v27
	v_sub_f16_e32 v43, v43, v44
	v_fmamk_f16 v75, v65, 0xbaee, v64
	v_fmac_f16_e32 v64, 0x3aee, v65
	v_fmamk_f16 v65, v63, 0x3aee, v30
	v_fmac_f16_e32 v30, 0xbaee, v63
	;; [unrolled: 2-line block ×3, first 2 shown]
	v_pack_b32_f16 v8, v74, v9
	v_pack_b32_f16 v9, v72, v11
	;; [unrolled: 1-line block ×3, first 2 shown]
	v_fmamk_f16 v69, v66, 0xbaee, v45
	v_fmac_f16_e32 v45, 0x3aee, v66
	v_fmamk_f16 v66, v12, 0x3aee, v28
	v_fmac_f16_e32 v28, 0xbaee, v12
	v_fma_f16 v12, -0.5, v49, v82
	v_add_f16_e32 v44, v67, v44
	v_fma_f16 v23, -0.5, v76, v23
	v_add_f16_e32 v47, v47, v48
	v_add_f16_e32 v48, v31, v32
	v_sub_f16_e32 v49, v51, v52
	v_add_f16_e32 v67, v83, v31
	v_add_f16_e32 v70, v51, v52
	;; [unrolled: 1-line block ×3, first 2 shown]
	v_fma_f16 v25, v57, v36, -v25
	v_fma_f16 v29, v58, v80, -v29
	v_fmac_f16_e32 v53, v22, v57
	v_fmac_f16_e32 v54, v24, v58
	v_mul_f16_e32 v22, v19, v55
	v_mul_f16_e32 v24, v21, v56
	;; [unrolled: 1-line block ×4, first 2 shown]
	s_wait_loadcnt 0x0
	v_lshrrev_b32_e32 v56, 16, v59
	v_lshrrev_b32_e32 v57, 16, v60
	v_fmamk_f16 v63, v77, 0xbaee, v71
	v_fmac_f16_e32 v71, 0x3aee, v77
	v_fmamk_f16 v77, v10, 0x3aee, v27
	v_sub_f16_e32 v31, v31, v32
	v_pack_b32_f16 v30, v30, v64
	v_fmamk_f16 v64, v50, 0xbaee, v12
	v_fmac_f16_e32 v12, 0x3aee, v50
	v_fmamk_f16 v50, v43, 0x3aee, v23
	v_fmac_f16_e32 v23, 0xbaee, v43
	v_fma_f16 v43, -0.5, v48, v83
	v_add_f16_e32 v32, v67, v32
	v_fma_f16 v20, -0.5, v70, v20
	v_add_f16_e32 v48, v51, v52
	v_add_f16_e32 v51, v25, v29
	v_sub_f16_e32 v52, v53, v54
	v_add_f16_e32 v67, v53, v54
	v_add_f16_e32 v53, v18, v53
	v_fma_f16 v22, v37, v61, -v22
	v_fma_f16 v24, v38, v81, -v24
	v_fmac_f16_e32 v36, v19, v37
	v_fmac_f16_e32 v55, v21, v38
	v_mul_f16_e32 v19, v17, v56
	v_mul_f16_e32 v21, v15, v57
	;; [unrolled: 1-line block ×4, first 2 shown]
	v_pack_b32_f16 v58, v77, v63
	v_pack_b32_f16 v63, v65, v75
	v_add_f16_e32 v65, v84, v25
	v_sub_f16_e32 v25, v25, v29
	v_pack_b32_f16 v44, v47, v44
	v_fmamk_f16 v47, v49, 0xbaee, v43
	v_fmac_f16_e32 v43, 0x3aee, v49
	v_fmamk_f16 v49, v31, 0x3aee, v20
	v_fmac_f16_e32 v20, 0xbaee, v31
	v_fma_f16 v31, -0.5, v51, v84
	v_fma_f16 v18, -0.5, v67, v18
	v_add_f16_e32 v51, v53, v54
	v_add_f16_e32 v53, v22, v24
	;; [unrolled: 1-line block ×3, first 2 shown]
	v_fma_f16 v19, v59, v62, -v19
	v_fma_f16 v21, v60, v68, -v21
	v_fmac_f16_e32 v37, v17, v59
	v_fmac_f16_e32 v38, v15, v60
	v_sub_f16_e32 v54, v36, v55
	v_add_f16_e32 v56, v85, v22
	v_sub_f16_e32 v22, v22, v24
	v_add_f16_e32 v36, v16, v36
	v_pack_b32_f16 v15, v48, v32
	v_fmamk_f16 v32, v25, 0x3aee, v18
	v_fmac_f16_e32 v18, 0xbaee, v25
	v_fma_f16 v25, -0.5, v53, v85
	v_fma_f16 v16, -0.5, v57, v16
	v_add_f16_e32 v48, v19, v21
	v_add_f16_e32 v53, v37, v38
	v_fma_f16 v73, -0.5, v98, v89
	v_pack_b32_f16 v12, v23, v12
	v_pack_b32_f16 v17, v50, v64
	v_fmamk_f16 v23, v52, 0xbaee, v31
	v_fmac_f16_e32 v31, 0x3aee, v52
	v_add_f16_e32 v24, v56, v24
	v_add_f16_e32 v36, v36, v55
	v_sub_f16_e32 v50, v37, v38
	v_add_f16_e32 v52, v86, v19
	v_sub_f16_e32 v19, v19, v21
	v_add_f16_e32 v37, v14, v37
	v_pack_b32_f16 v20, v20, v43
	v_pack_b32_f16 v43, v49, v47
	v_fmamk_f16 v49, v22, 0x3aee, v16
	v_fmac_f16_e32 v16, 0xbaee, v22
	v_fma_f16 v22, -0.5, v48, v86
	v_fma_f16 v14, -0.5, v53, v14
	v_fmac_f16_e32 v27, 0xbaee, v10
	v_fmamk_f16 v10, v99, 0xbaee, v73
	v_fmac_f16_e32 v73, 0x3aee, v99
	v_add_f16_e32 v29, v65, v29
	v_fmamk_f16 v47, v54, 0xbaee, v25
	v_fmac_f16_e32 v25, 0x3aee, v54
	v_add_f16_e32 v21, v52, v21
	v_add_f16_e32 v37, v37, v38
	v_pack_b32_f16 v24, v36, v24
	v_pack_b32_f16 v18, v18, v31
	v_fmamk_f16 v31, v50, 0xbaee, v22
	v_fmac_f16_e32 v22, 0x3aee, v50
	v_fmamk_f16 v36, v19, 0x3aee, v14
	v_fmac_f16_e32 v14, 0xbaee, v19
	v_pack_b32_f16 v26, v26, v73
	v_pack_b32_f16 v27, v27, v71
	v_pack_b32_f16 v10, v79, v10
	v_pack_b32_f16 v29, v51, v29
	v_pack_b32_f16 v19, v32, v23
	v_pack_b32_f16 v21, v37, v21
	v_pack_b32_f16 v16, v16, v25
	v_pack_b32_f16 v23, v49, v47
	v_pack_b32_f16 v14, v14, v22
	v_pack_b32_f16 v22, v36, v31
	s_clause 0x17
	global_store_b32 v[0:1], v58, off offset:6804
	global_store_b32 v[0:1], v63, off offset:7128
	;; [unrolled: 1-line block ×16, first 2 shown]
	global_store_b32 v[0:1], v8, off
	global_store_b32 v[0:1], v9, off offset:324
	global_store_b32 v[0:1], v11, off offset:648
	;; [unrolled: 1-line block ×7, first 2 shown]
	v_lshlrev_b64_e32 v[2:3], 2, v[4:5]
	v_add_co_u32 v4, vcc_lo, v0, v39
	s_wait_alu 0xfffd
	v_add_co_ci_u32_e32 v5, vcc_lo, v1, v40, vcc_lo
	v_pack_b32_f16 v8, v46, v13
	v_pack_b32_f16 v9, v28, v45
	v_add_co_u32 v0, vcc_lo, v0, v2
	v_pack_b32_f16 v10, v66, v69
	s_wait_alu 0xfffd
	v_add_co_ci_u32_e32 v1, vcc_lo, v1, v3, vcc_lo
	v_pack_b32_f16 v2, v42, v41
	v_pack_b32_f16 v3, v33, v6
	;; [unrolled: 1-line block ×3, first 2 shown]
	s_clause 0x5
	global_store_b32 v[4:5], v8, off offset:2592
	global_store_b32 v[4:5], v9, off offset:5832
	;; [unrolled: 1-line block ×6, first 2 shown]
.LBB0_13:
	s_nop 0
	s_sendmsg sendmsg(MSG_DEALLOC_VGPRS)
	s_endpgm
	.section	.rodata,"a",@progbits
	.p2align	6, 0x0
	.amdhsa_kernel fft_rtc_back_len2430_factors_10_3_3_3_3_3_wgs_81_tpt_81_halfLds_half_ip_CI_unitstride_sbrr_dirReg
		.amdhsa_group_segment_fixed_size 0
		.amdhsa_private_segment_fixed_size 0
		.amdhsa_kernarg_size 88
		.amdhsa_user_sgpr_count 2
		.amdhsa_user_sgpr_dispatch_ptr 0
		.amdhsa_user_sgpr_queue_ptr 0
		.amdhsa_user_sgpr_kernarg_segment_ptr 1
		.amdhsa_user_sgpr_dispatch_id 0
		.amdhsa_user_sgpr_private_segment_size 0
		.amdhsa_wavefront_size32 1
		.amdhsa_uses_dynamic_stack 0
		.amdhsa_enable_private_segment 0
		.amdhsa_system_sgpr_workgroup_id_x 1
		.amdhsa_system_sgpr_workgroup_id_y 0
		.amdhsa_system_sgpr_workgroup_id_z 0
		.amdhsa_system_sgpr_workgroup_info 0
		.amdhsa_system_vgpr_workitem_id 0
		.amdhsa_next_free_vgpr 123
		.amdhsa_next_free_sgpr 32
		.amdhsa_reserve_vcc 1
		.amdhsa_float_round_mode_32 0
		.amdhsa_float_round_mode_16_64 0
		.amdhsa_float_denorm_mode_32 3
		.amdhsa_float_denorm_mode_16_64 3
		.amdhsa_fp16_overflow 0
		.amdhsa_workgroup_processor_mode 1
		.amdhsa_memory_ordered 1
		.amdhsa_forward_progress 0
		.amdhsa_round_robin_scheduling 0
		.amdhsa_exception_fp_ieee_invalid_op 0
		.amdhsa_exception_fp_denorm_src 0
		.amdhsa_exception_fp_ieee_div_zero 0
		.amdhsa_exception_fp_ieee_overflow 0
		.amdhsa_exception_fp_ieee_underflow 0
		.amdhsa_exception_fp_ieee_inexact 0
		.amdhsa_exception_int_div_zero 0
	.end_amdhsa_kernel
	.text
.Lfunc_end0:
	.size	fft_rtc_back_len2430_factors_10_3_3_3_3_3_wgs_81_tpt_81_halfLds_half_ip_CI_unitstride_sbrr_dirReg, .Lfunc_end0-fft_rtc_back_len2430_factors_10_3_3_3_3_3_wgs_81_tpt_81_halfLds_half_ip_CI_unitstride_sbrr_dirReg
                                        ; -- End function
	.section	.AMDGPU.csdata,"",@progbits
; Kernel info:
; codeLenInByte = 20836
; NumSgprs: 34
; NumVgprs: 123
; ScratchSize: 0
; MemoryBound: 0
; FloatMode: 240
; IeeeMode: 1
; LDSByteSize: 0 bytes/workgroup (compile time only)
; SGPRBlocks: 4
; VGPRBlocks: 15
; NumSGPRsForWavesPerEU: 34
; NumVGPRsForWavesPerEU: 123
; Occupancy: 10
; WaveLimiterHint : 1
; COMPUTE_PGM_RSRC2:SCRATCH_EN: 0
; COMPUTE_PGM_RSRC2:USER_SGPR: 2
; COMPUTE_PGM_RSRC2:TRAP_HANDLER: 0
; COMPUTE_PGM_RSRC2:TGID_X_EN: 1
; COMPUTE_PGM_RSRC2:TGID_Y_EN: 0
; COMPUTE_PGM_RSRC2:TGID_Z_EN: 0
; COMPUTE_PGM_RSRC2:TIDIG_COMP_CNT: 0
	.text
	.p2alignl 7, 3214868480
	.fill 96, 4, 3214868480
	.type	__hip_cuid_29892b8fe3e3c258,@object ; @__hip_cuid_29892b8fe3e3c258
	.section	.bss,"aw",@nobits
	.globl	__hip_cuid_29892b8fe3e3c258
__hip_cuid_29892b8fe3e3c258:
	.byte	0                               ; 0x0
	.size	__hip_cuid_29892b8fe3e3c258, 1

	.ident	"AMD clang version 19.0.0git (https://github.com/RadeonOpenCompute/llvm-project roc-6.4.0 25133 c7fe45cf4b819c5991fe208aaa96edf142730f1d)"
	.section	".note.GNU-stack","",@progbits
	.addrsig
	.addrsig_sym __hip_cuid_29892b8fe3e3c258
	.amdgpu_metadata
---
amdhsa.kernels:
  - .args:
      - .actual_access:  read_only
        .address_space:  global
        .offset:         0
        .size:           8
        .value_kind:     global_buffer
      - .offset:         8
        .size:           8
        .value_kind:     by_value
      - .actual_access:  read_only
        .address_space:  global
        .offset:         16
        .size:           8
        .value_kind:     global_buffer
      - .actual_access:  read_only
        .address_space:  global
        .offset:         24
        .size:           8
        .value_kind:     global_buffer
      - .offset:         32
        .size:           8
        .value_kind:     by_value
      - .actual_access:  read_only
        .address_space:  global
        .offset:         40
        .size:           8
        .value_kind:     global_buffer
      - .actual_access:  read_only
        .address_space:  global
        .offset:         48
        .size:           8
        .value_kind:     global_buffer
      - .offset:         56
        .size:           4
        .value_kind:     by_value
      - .actual_access:  read_only
        .address_space:  global
        .offset:         64
        .size:           8
        .value_kind:     global_buffer
      - .actual_access:  read_only
        .address_space:  global
        .offset:         72
        .size:           8
        .value_kind:     global_buffer
      - .address_space:  global
        .offset:         80
        .size:           8
        .value_kind:     global_buffer
    .group_segment_fixed_size: 0
    .kernarg_segment_align: 8
    .kernarg_segment_size: 88
    .language:       OpenCL C
    .language_version:
      - 2
      - 0
    .max_flat_workgroup_size: 81
    .name:           fft_rtc_back_len2430_factors_10_3_3_3_3_3_wgs_81_tpt_81_halfLds_half_ip_CI_unitstride_sbrr_dirReg
    .private_segment_fixed_size: 0
    .sgpr_count:     34
    .sgpr_spill_count: 0
    .symbol:         fft_rtc_back_len2430_factors_10_3_3_3_3_3_wgs_81_tpt_81_halfLds_half_ip_CI_unitstride_sbrr_dirReg.kd
    .uniform_work_group_size: 1
    .uses_dynamic_stack: false
    .vgpr_count:     123
    .vgpr_spill_count: 0
    .wavefront_size: 32
    .workgroup_processor_mode: 1
amdhsa.target:   amdgcn-amd-amdhsa--gfx1201
amdhsa.version:
  - 1
  - 2
...

	.end_amdgpu_metadata
